;; amdgpu-corpus repo=ROCm/rocFFT kind=compiled arch=gfx906 opt=O3
	.text
	.amdgcn_target "amdgcn-amd-amdhsa--gfx906"
	.amdhsa_code_object_version 6
	.protected	bluestein_single_fwd_len4096_dim1_dp_op_CI_CI ; -- Begin function bluestein_single_fwd_len4096_dim1_dp_op_CI_CI
	.globl	bluestein_single_fwd_len4096_dim1_dp_op_CI_CI
	.p2align	8
	.type	bluestein_single_fwd_len4096_dim1_dp_op_CI_CI,@function
bluestein_single_fwd_len4096_dim1_dp_op_CI_CI: ; @bluestein_single_fwd_len4096_dim1_dp_op_CI_CI
; %bb.0:
	s_load_dwordx4 s[12:15], s[4:5], 0x28
	s_mov_b64 s[26:27], s[2:3]
	s_mov_b64 s[24:25], s[0:1]
	s_add_u32 s24, s24, s7
	v_mov_b32_e32 v253, v0
	s_waitcnt lgkmcnt(0)
	v_mov_b32_e32 v0, s12
	v_mov_b32_e32 v1, s13
	s_mov_b32 s7, 0
	v_cmp_lt_u64_e32 vcc, s[6:7], v[0:1]
	s_addc_u32 s25, s25, 0
	s_and_saveexec_b64 s[0:1], vcc
	s_cbranch_execz .LBB0_2
; %bb.1:
	s_load_dwordx4 s[8:11], s[4:5], 0x0
	s_load_dwordx4 s[16:19], s[4:5], 0x18
	s_load_dwordx2 s[12:13], s[4:5], 0x38
	v_mov_b32_e32 v0, s6
	v_mov_b32_e32 v1, s7
	v_lshlrev_b32_e32 v203, 4, v253
	s_waitcnt lgkmcnt(0)
	s_load_dwordx4 s[0:3], s[18:19], 0x0
	global_load_dwordx4 v[61:64], v203, s[8:9]
	v_or_b32_e32 v255, 0x6000, v203
	global_load_dwordx4 v[37:40], v255, s[8:9]
	s_add_u32 s18, s8, 0x10000
	s_waitcnt lgkmcnt(0)
	v_mad_u64_u32 v[201:202], s[4:5], s2, v0, 0
	s_load_dwordx4 s[4:7], s[16:17], 0x0
	s_addc_u32 s19, s9, 0
	v_mov_b32_e32 v1, v202
	v_mad_u64_u32 v[1:2], s[2:3], s3, v0, v[1:2]
	v_or_b32_e32 v217, 0x4000, v203
	v_or_b32_e32 v218, 0x2000, v203
	v_mov_b32_e32 v202, v1
	s_waitcnt lgkmcnt(0)
	v_mad_u64_u32 v[1:2], s[2:3], s6, v0, 0
	global_load_dwordx4 v[57:60], v218, s[8:9]
	v_or_b32_e32 v219, 0x3000, v203
	v_mad_u64_u32 v[2:3], s[2:3], s7, v0, v[2:3]
	v_mad_u64_u32 v[3:4], s[2:3], s4, v253, 0
	global_load_dwordx4 v[45:48], v219, s[8:9]
	v_or_b32_e32 v254, 0x7000, v203
	v_mov_b32_e32 v0, v4
	v_mad_u64_u32 v[4:5], s[2:3], s5, v253, v[0:1]
	v_lshlrev_b64 v[0:1], 4, v[1:2]
	s_lshl_b64 s[2:3], s[4:5], 12
	v_add_co_u32_e32 v2, vcc, s14, v0
	v_mov_b32_e32 v0, s15
	v_addc_co_u32_e32 v5, vcc, v0, v1, vcc
	v_lshlrev_b64 v[0:1], 4, v[3:4]
	global_load_dwordx4 v[213:216], v254, s[8:9]
	v_add_co_u32_e32 v9, vcc, v2, v0
	v_addc_co_u32_e32 v10, vcc, v5, v1, vcc
	global_load_dwordx4 v[1:4], v[9:10], off
	v_add_co_u32_e32 v11, vcc, s2, v9
	s_mov_b32 s5, 0x3fe6a09e
	s_mov_b32 s14, 0xcf328d46
	;; [unrolled: 1-line block ×7, first 2 shown]
	v_mov_b32_e32 v142, s11
	s_movk_i32 s20, 0xf0
	v_mov_b32_e32 v141, s10
	v_lshlrev_b32_e32 v204, 8, v253
	global_load_dwordx4 v[49:52], v217, s[8:9]
	s_waitcnt vmcnt(1)
	v_mul_f64 v[5:6], v[3:4], v[63:64]
	v_fma_f64 v[5:6], v[1:2], v[61:62], v[5:6]
	v_mul_f64 v[0:1], v[1:2], v[63:64]
	v_fma_f64 v[7:8], v[3:4], v[61:62], -v[0:1]
	v_mov_b32_e32 v1, s3
	v_addc_co_u32_e32 v12, vcc, v10, v1, vcc
	v_or_b32_e32 v0, 0x1000, v203
	global_load_dwordx4 v[53:56], v0, s[8:9]
	v_add_co_u32_e32 v10, vcc, s2, v11
	ds_write_b128 v203, v[5:8]
	global_load_dwordx4 v[2:5], v[11:12], off
	v_addc_co_u32_e32 v11, vcc, v12, v1, vcc
	v_or_b32_e32 v0, 0x5000, v203
	global_load_dwordx4 v[41:44], v0, s[8:9]
	v_or_b32_e32 v0, 0x8000, v203
	global_load_dwordx4 v[209:212], v0, s[8:9]
	;; [unrolled: 2-line block ×3, first 2 shown]
	v_or_b32_e32 v0, 0xa000, v203
	s_waitcnt vmcnt(3)
	v_mul_f64 v[6:7], v[4:5], v[55:56]
	v_fma_f64 v[6:7], v[2:3], v[53:54], v[6:7]
	v_mul_f64 v[2:3], v[2:3], v[55:56]
	v_fma_f64 v[8:9], v[4:5], v[53:54], -v[2:3]
	global_load_dwordx4 v[2:5], v[10:11], off
	v_add_co_u32_e32 v10, vcc, s2, v10
	v_addc_co_u32_e32 v11, vcc, v11, v1, vcc
	ds_write_b128 v203, v[6:9] offset:4096
	s_waitcnt vmcnt(0)
	v_mul_f64 v[6:7], v[4:5], v[59:60]
	v_fma_f64 v[6:7], v[2:3], v[57:58], v[6:7]
	v_mul_f64 v[2:3], v[2:3], v[59:60]
	v_fma_f64 v[8:9], v[4:5], v[57:58], -v[2:3]
	global_load_dwordx4 v[2:5], v[10:11], off
	v_add_co_u32_e32 v10, vcc, s2, v10
	v_addc_co_u32_e32 v11, vcc, v11, v1, vcc
	ds_write_b128 v203, v[6:9] offset:8192
	;; [unrolled: 9-line block ×8, first 2 shown]
	buffer_store_dword v12, off, s[24:27], 0 offset:80 ; 4-byte Folded Spill
	s_nop 0
	buffer_store_dword v13, off, s[24:27], 0 offset:84 ; 4-byte Folded Spill
	buffer_store_dword v14, off, s[24:27], 0 offset:88 ; 4-byte Folded Spill
	;; [unrolled: 1-line block ×3, first 2 shown]
	s_waitcnt vmcnt(4)
	v_mul_f64 v[6:7], v[4:5], v[14:15]
	v_fma_f64 v[6:7], v[2:3], v[12:13], v[6:7]
	v_mul_f64 v[2:3], v[2:3], v[14:15]
	v_fma_f64 v[8:9], v[4:5], v[12:13], -v[2:3]
	global_load_dwordx4 v[12:15], v0, s[8:9]
	global_load_dwordx4 v[2:5], v[10:11], off
	v_or_b32_e32 v0, 0xb000, v203
	v_add_co_u32_e32 v10, vcc, s2, v10
	v_addc_co_u32_e32 v11, vcc, v11, v1, vcc
	ds_write_b128 v203, v[6:9] offset:36864
	s_waitcnt vmcnt(1)
	buffer_store_dword v12, off, s[24:27], 0 offset:64 ; 4-byte Folded Spill
	s_nop 0
	buffer_store_dword v13, off, s[24:27], 0 offset:68 ; 4-byte Folded Spill
	buffer_store_dword v14, off, s[24:27], 0 offset:72 ; 4-byte Folded Spill
	;; [unrolled: 1-line block ×3, first 2 shown]
	s_waitcnt vmcnt(4)
	v_mul_f64 v[6:7], v[4:5], v[14:15]
	v_fma_f64 v[6:7], v[2:3], v[12:13], v[6:7]
	v_mul_f64 v[2:3], v[2:3], v[14:15]
	v_fma_f64 v[8:9], v[4:5], v[12:13], -v[2:3]
	global_load_dwordx4 v[12:15], v0, s[8:9]
	global_load_dwordx4 v[2:5], v[10:11], off
	v_or_b32_e32 v0, 0xc000, v203
	v_add_co_u32_e32 v10, vcc, s2, v10
	v_addc_co_u32_e32 v11, vcc, v11, v1, vcc
	ds_write_b128 v203, v[6:9] offset:40960
	s_waitcnt vmcnt(1)
	buffer_store_dword v12, off, s[24:27], 0 offset:48 ; 4-byte Folded Spill
	s_nop 0
	buffer_store_dword v13, off, s[24:27], 0 offset:52 ; 4-byte Folded Spill
	buffer_store_dword v14, off, s[24:27], 0 offset:56 ; 4-byte Folded Spill
	;; [unrolled: 1-line block ×3, first 2 shown]
	s_waitcnt vmcnt(4)
	v_mul_f64 v[6:7], v[4:5], v[14:15]
	v_fma_f64 v[6:7], v[2:3], v[12:13], v[6:7]
	v_mul_f64 v[2:3], v[2:3], v[14:15]
	v_fma_f64 v[8:9], v[4:5], v[12:13], -v[2:3]
	global_load_dwordx4 v[12:15], v0, s[8:9]
	global_load_dwordx4 v[2:5], v[10:11], off
	v_or_b32_e32 v0, 0xd000, v203
	ds_write_b128 v203, v[6:9] offset:45056
	s_waitcnt vmcnt(1)
	buffer_store_dword v12, off, s[24:27], 0 offset:32 ; 4-byte Folded Spill
	s_nop 0
	buffer_store_dword v13, off, s[24:27], 0 offset:36 ; 4-byte Folded Spill
	buffer_store_dword v14, off, s[24:27], 0 offset:40 ; 4-byte Folded Spill
	;; [unrolled: 1-line block ×3, first 2 shown]
	s_waitcnt vmcnt(4)
	v_mul_f64 v[6:7], v[4:5], v[14:15]
	v_fma_f64 v[6:7], v[2:3], v[12:13], v[6:7]
	v_mul_f64 v[2:3], v[2:3], v[14:15]
	v_fma_f64 v[8:9], v[4:5], v[12:13], -v[2:3]
	global_load_dwordx4 v[13:16], v0, s[8:9]
	v_add_co_u32_e32 v2, vcc, s2, v10
	v_addc_co_u32_e32 v3, vcc, v11, v1, vcc
	v_or_b32_e32 v0, 0xe000, v203
	ds_write_b128 v203, v[6:9] offset:49152
	global_load_dwordx4 v[9:12], v[2:3], off
	v_add_co_u32_e32 v2, vcc, s2, v2
	v_addc_co_u32_e32 v3, vcc, v3, v1, vcc
	s_waitcnt vmcnt(1)
	buffer_store_dword v13, off, s[24:27], 0 ; 4-byte Folded Spill
	s_nop 0
	buffer_store_dword v14, off, s[24:27], 0 offset:4 ; 4-byte Folded Spill
	buffer_store_dword v15, off, s[24:27], 0 offset:8 ; 4-byte Folded Spill
	;; [unrolled: 1-line block ×3, first 2 shown]
	s_waitcnt vmcnt(4)
	v_mul_f64 v[4:5], v[11:12], v[15:16]
	v_fma_f64 v[65:66], v[9:10], v[13:14], v[4:5]
	v_mul_f64 v[4:5], v[9:10], v[15:16]
	global_load_dwordx4 v[6:9], v0, s[8:9]
	v_add_co_u32_e32 v0, vcc, s2, v2
	v_addc_co_u32_e32 v1, vcc, v3, v1, vcc
	s_mov_b32 s2, 0x667f3bcd
	s_mov_b32 s3, 0xbfe6a09e
	v_fma_f64 v[67:68], v[11:12], v[13:14], -v[4:5]
	v_or_b32_e32 v14, 0xf000, v203
	s_mov_b32 s4, s2
	ds_write_b128 v203, v[65:68] offset:53248
	global_load_dwordx4 v[65:68], v[2:3], off
	s_waitcnt vmcnt(1)
	buffer_store_dword v6, off, s[24:27], 0 offset:16 ; 4-byte Folded Spill
	s_nop 0
	buffer_store_dword v7, off, s[24:27], 0 offset:20 ; 4-byte Folded Spill
	buffer_store_dword v8, off, s[24:27], 0 offset:24 ; 4-byte Folded Spill
	;; [unrolled: 1-line block ×3, first 2 shown]
	s_waitcnt vmcnt(4)
	v_mul_f64 v[4:5], v[67:68], v[8:9]
	v_fma_f64 v[69:70], v[65:66], v[6:7], v[4:5]
	v_mul_f64 v[4:5], v[65:66], v[8:9]
	v_fma_f64 v[71:72], v[67:68], v[6:7], -v[4:5]
	global_load_dwordx4 v[65:68], v[0:1], off
	ds_write_b128 v203, v[69:72] offset:57344
	global_load_dwordx4 v[0:3], v14, s[8:9]
	s_mov_b32 s9, 0x3fd87de2
	s_mov_b32 s8, s6
	s_waitcnt vmcnt(0)
	v_mov_b32_e32 v5, v3
	v_mov_b32_e32 v4, v2
	;; [unrolled: 1-line block ×4, first 2 shown]
	v_mul_f64 v[0:1], v[67:68], v[4:5]
	v_fma_f64 v[69:70], v[65:66], v[2:3], v[0:1]
	v_mul_f64 v[0:1], v[65:66], v[4:5]
	buffer_store_dword v2, off, s[24:27], 0 offset:96 ; 4-byte Folded Spill
	s_nop 0
	buffer_store_dword v3, off, s[24:27], 0 offset:100 ; 4-byte Folded Spill
	buffer_store_dword v4, off, s[24:27], 0 offset:104 ; 4-byte Folded Spill
	;; [unrolled: 1-line block ×3, first 2 shown]
	v_fma_f64 v[71:72], v[67:68], v[2:3], -v[0:1]
	ds_write_b128 v203, v[69:72] offset:61440
	s_waitcnt vmcnt(0) lgkmcnt(0)
	s_barrier
	ds_read_b128 v[65:68], v203
	ds_read_b128 v[69:72], v203 offset:4096
	ds_read_b128 v[73:76], v203 offset:8192
	;; [unrolled: 1-line block ×15, first 2 shown]
	s_waitcnt lgkmcnt(7)
	v_add_f64 v[0:1], v[65:66], -v[97:98]
	v_add_f64 v[2:3], v[67:68], -v[99:100]
	s_waitcnt lgkmcnt(3)
	v_add_f64 v[8:9], v[81:82], -v[113:114]
	v_add_f64 v[10:11], v[83:84], -v[115:116]
	;; [unrolled: 3-line block ×3, first 2 shown]
	v_add_f64 v[101:102], v[69:70], -v[101:102]
	v_add_f64 v[103:104], v[71:72], -v[103:104]
	v_fma_f64 v[4:5], v[65:66], 2.0, -v[0:1]
	v_fma_f64 v[6:7], v[67:68], 2.0, -v[2:3]
	;; [unrolled: 1-line block ×4, first 2 shown]
	v_add_f64 v[81:82], v[73:74], -v[105:106]
	v_add_f64 v[83:84], v[75:76], -v[107:108]
	v_fma_f64 v[89:90], v[89:90], 2.0, -v[97:98]
	v_fma_f64 v[91:92], v[91:92], 2.0, -v[99:100]
	v_add_f64 v[105:106], v[85:86], -v[117:118]
	v_add_f64 v[107:108], v[87:88], -v[119:120]
	;; [unrolled: 1-line block ×4, first 2 shown]
	v_fma_f64 v[73:74], v[73:74], 2.0, -v[81:82]
	v_fma_f64 v[75:76], v[75:76], 2.0, -v[83:84]
	s_waitcnt lgkmcnt(0)
	v_add_f64 v[113:114], v[93:94], -v[125:126]
	v_add_f64 v[115:116], v[95:96], -v[127:128]
	v_fma_f64 v[69:70], v[69:70], 2.0, -v[101:102]
	v_fma_f64 v[71:72], v[71:72], 2.0, -v[103:104]
	;; [unrolled: 1-line block ×8, first 2 shown]
	v_add_f64 v[65:66], v[4:5], -v[65:66]
	v_add_f64 v[67:68], v[6:7], -v[67:68]
	;; [unrolled: 1-line block ×5, first 2 shown]
	v_add_f64 v[8:9], v[2:3], v[8:9]
	v_add_f64 v[99:100], v[81:82], -v[99:100]
	v_add_f64 v[97:98], v[83:84], v[97:98]
	v_add_f64 v[85:86], v[69:70], -v[85:86]
	v_add_f64 v[87:88], v[71:72], -v[87:88]
	;; [unrolled: 1-line block ×5, first 2 shown]
	v_add_f64 v[127:128], v[67:68], v[89:90]
	v_fma_f64 v[4:5], v[4:5], 2.0, -v[65:66]
	v_fma_f64 v[6:7], v[6:7], 2.0, -v[67:68]
	;; [unrolled: 1-line block ×6, first 2 shown]
	v_add_f64 v[107:108], v[101:102], -v[107:108]
	v_add_f64 v[105:106], v[103:104], v[105:106]
	v_fma_f64 v[77:78], v[77:78], 2.0, -v[93:94]
	v_fma_f64 v[79:80], v[79:80], 2.0, -v[95:96]
	v_add_f64 v[115:116], v[109:110], -v[115:116]
	v_add_f64 v[113:114], v[111:112], v[113:114]
	v_fma_f64 v[89:90], v[65:66], 2.0, -v[125:126]
	v_fma_f64 v[91:92], v[67:68], 2.0, -v[127:128]
	v_fma_f64 v[65:66], v[99:100], s[4:5], v[10:11]
	v_fma_f64 v[67:68], v[97:98], s[4:5], v[8:9]
	v_fma_f64 v[0:1], v[0:1], 2.0, -v[10:11]
	v_fma_f64 v[2:3], v[2:3], 2.0, -v[8:9]
	;; [unrolled: 1-line block ×8, first 2 shown]
	v_fma_f64 v[129:130], v[97:98], s[2:3], v[65:66]
	v_fma_f64 v[131:132], v[99:100], s[4:5], v[67:68]
	v_add_f64 v[99:100], v[69:70], -v[77:78]
	v_add_f64 v[97:98], v[71:72], -v[79:80]
	;; [unrolled: 1-line block ×4, first 2 shown]
	v_fma_f64 v[73:74], v[81:82], s[2:3], v[0:1]
	v_fma_f64 v[75:76], v[83:84], s[2:3], v[2:3]
	v_add_f64 v[133:134], v[85:86], -v[95:96]
	v_add_f64 v[135:136], v[87:88], v[93:94]
	v_fma_f64 v[65:66], v[69:70], 2.0, -v[99:100]
	v_fma_f64 v[67:68], v[71:72], 2.0, -v[97:98]
	v_fma_f64 v[69:70], v[109:110], s[2:3], v[101:102]
	v_fma_f64 v[71:72], v[111:112], s[2:3], v[103:104]
	v_fma_f64 v[4:5], v[4:5], 2.0, -v[117:118]
	v_fma_f64 v[6:7], v[6:7], 2.0, -v[119:120]
	v_fma_f64 v[121:122], v[83:84], s[2:3], v[73:74]
	v_fma_f64 v[123:124], v[81:82], s[4:5], v[75:76]
	;; [unrolled: 4-line block ×3, first 2 shown]
	v_fma_f64 v[69:70], v[115:116], s[4:5], v[107:108]
	v_fma_f64 v[71:72], v[113:114], s[4:5], v[105:106]
	v_fma_f64 v[0:1], v[0:1], 2.0, -v[121:122]
	v_fma_f64 v[2:3], v[2:3], 2.0, -v[123:124]
	v_add_f64 v[65:66], v[4:5], -v[65:66]
	v_add_f64 v[67:68], v[6:7], -v[67:68]
	v_fma_f64 v[75:76], v[101:102], 2.0, -v[111:112]
	v_fma_f64 v[73:74], v[103:104], 2.0, -v[109:110]
	v_fma_f64 v[137:138], v[113:114], s[2:3], v[69:70]
	v_fma_f64 v[139:140], v[115:116], s[4:5], v[71:72]
	v_fma_f64 v[10:11], v[10:11], 2.0, -v[129:130]
	v_fma_f64 v[8:9], v[8:9], 2.0, -v[131:132]
	;; [unrolled: 1-line block ×4, first 2 shown]
	v_fma_f64 v[4:5], v[75:76], s[14:15], v[0:1]
	v_fma_f64 v[6:7], v[73:74], s[14:15], v[2:3]
	v_fma_f64 v[93:94], v[107:108], 2.0, -v[137:138]
	v_fma_f64 v[95:96], v[105:106], 2.0, -v[139:140]
	v_add_f64 v[97:98], v[117:118], -v[97:98]
	v_add_f64 v[99:100], v[119:120], v[99:100]
	s_barrier
	v_fma_f64 v[73:74], v[73:74], s[6:7], v[4:5]
	v_fma_f64 v[75:76], v[75:76], s[8:9], v[6:7]
	v_fma_f64 v[101:102], v[117:118], 2.0, -v[97:98]
	v_fma_f64 v[103:104], v[119:120], 2.0, -v[99:100]
	;; [unrolled: 1-line block ×4, first 2 shown]
	v_fma_f64 v[0:1], v[83:84], s[2:3], v[89:90]
	v_fma_f64 v[2:3], v[81:82], s[2:3], v[91:92]
	;; [unrolled: 1-line block ×6, first 2 shown]
	v_fma_f64 v[85:86], v[89:90], 2.0, -v[81:82]
	v_fma_f64 v[87:88], v[91:92], 2.0, -v[83:84]
	v_fma_f64 v[89:90], v[95:96], s[14:15], v[0:1]
	v_fma_f64 v[91:92], v[93:94], s[16:17], v[2:3]
	v_fma_f64 v[0:1], v[111:112], s[8:9], v[121:122]
	v_fma_f64 v[2:3], v[109:110], s[8:9], v[123:124]
	v_fma_f64 v[93:94], v[10:11], 2.0, -v[89:90]
	v_fma_f64 v[95:96], v[8:9], 2.0, -v[91:92]
	v_fma_f64 v[105:106], v[109:110], s[14:15], v[0:1]
	v_fma_f64 v[107:108], v[111:112], s[16:17], v[2:3]
	v_fma_f64 v[0:1], v[133:134], s[4:5], v[125:126]
	v_fma_f64 v[2:3], v[135:136], s[4:5], v[127:128]
	;; [unrolled: 6-line block ×3, first 2 shown]
	v_fma_f64 v[117:118], v[125:126], 2.0, -v[113:114]
	v_fma_f64 v[119:120], v[127:128], 2.0, -v[115:116]
	v_fma_f64 v[121:122], v[139:140], s[6:7], v[0:1]
	v_fma_f64 v[123:124], v[137:138], s[8:9], v[2:3]
	v_and_b32_e32 v0, 15, v253
	v_mad_u64_u32 v[0:1], s[10:11], v0, s20, v[141:142]
	v_fma_f64 v[125:126], v[129:130], 2.0, -v[121:122]
	v_fma_f64 v[127:128], v[131:132], 2.0, -v[123:124]
	ds_write_b128 v204, v[69:72]
	ds_write_b128 v204, v[77:80] offset:16
	ds_write_b128 v204, v[85:88] offset:32
	;; [unrolled: 1-line block ×15, first 2 shown]
	s_waitcnt lgkmcnt(0)
	s_barrier
	ds_read_b128 v[125:128], v203
	ds_read_b128 v[65:68], v203 offset:4096
	ds_read_b128 v[73:76], v203 offset:8192
	;; [unrolled: 1-line block ×15, first 2 shown]
	global_load_dwordx4 v[69:72], v[0:1], off offset:48
	global_load_dwordx4 v[77:80], v[0:1], off offset:32
	;; [unrolled: 1-line block ×3, first 2 shown]
	global_load_dwordx4 v[101:104], v[0:1], off
	s_waitcnt vmcnt(2) lgkmcnt(12)
	v_mul_f64 v[10:11], v[83:84], v[79:80]
	s_waitcnt vmcnt(1)
	v_mul_f64 v[6:7], v[75:76], v[87:88]
	s_waitcnt vmcnt(0)
	v_mul_f64 v[2:3], v[67:68], v[103:104]
	v_mul_f64 v[4:5], v[65:66], v[103:104]
	;; [unrolled: 1-line block ×3, first 2 shown]
	v_fma_f64 v[143:144], v[81:82], v[77:78], -v[10:11]
	v_mul_f64 v[10:11], v[81:82], v[79:80]
	v_fma_f64 v[2:3], v[65:66], v[101:102], -v[2:3]
	s_waitcnt lgkmcnt(11)
	v_mul_f64 v[65:66], v[89:90], v[71:72]
	v_fma_f64 v[4:5], v[67:68], v[101:102], v[4:5]
	v_fma_f64 v[6:7], v[73:74], v[85:86], -v[6:7]
	v_fma_f64 v[8:9], v[75:76], v[85:86], v[8:9]
	v_fma_f64 v[145:146], v[83:84], v[77:78], v[10:11]
	v_mul_f64 v[10:11], v[91:92], v[71:72]
	v_fma_f64 v[159:160], v[91:92], v[69:70], v[65:66]
	global_load_dwordx4 v[65:68], v[0:1], off offset:112
	global_load_dwordx4 v[73:76], v[0:1], off offset:96
	;; [unrolled: 1-line block ×4, first 2 shown]
	v_fma_f64 v[10:11], v[89:90], v[69:70], -v[10:11]
	s_waitcnt vmcnt(0) lgkmcnt(10)
	v_mul_f64 v[89:90], v[95:96], v[111:112]
	v_fma_f64 v[161:162], v[93:94], v[109:110], -v[89:90]
	v_mul_f64 v[89:90], v[93:94], v[111:112]
	v_fma_f64 v[163:164], v[95:96], v[109:110], v[89:90]
	s_waitcnt lgkmcnt(9)
	v_mul_f64 v[89:90], v[99:100], v[83:84]
	v_fma_f64 v[165:166], v[97:98], v[81:82], -v[89:90]
	v_mul_f64 v[89:90], v[97:98], v[83:84]
	v_fma_f64 v[167:168], v[99:100], v[81:82], v[89:90]
	s_waitcnt lgkmcnt(8)
	;; [unrolled: 5-line block ×3, first 2 shown]
	v_mul_f64 v[89:90], v[115:116], v[67:68]
	v_fma_f64 v[173:174], v[113:114], v[65:66], -v[89:90]
	v_mul_f64 v[89:90], v[113:114], v[67:68]
	v_fma_f64 v[175:176], v[115:116], v[65:66], v[89:90]
	global_load_dwordx4 v[89:92], v[0:1], off offset:176
	global_load_dwordx4 v[93:96], v[0:1], off offset:160
	;; [unrolled: 1-line block ×4, first 2 shown]
	s_waitcnt vmcnt(0) lgkmcnt(6)
	v_mul_f64 v[105:106], v[123:124], v[119:120]
	v_fma_f64 v[177:178], v[121:122], v[117:118], -v[105:106]
	v_mul_f64 v[105:106], v[121:122], v[119:120]
	v_fma_f64 v[179:180], v[123:124], v[117:118], v[105:106]
	s_waitcnt lgkmcnt(5)
	v_mul_f64 v[105:106], v[149:150], v[99:100]
	v_fma_f64 v[181:182], v[147:148], v[97:98], -v[105:106]
	v_mul_f64 v[105:106], v[147:148], v[99:100]
	v_fma_f64 v[147:148], v[149:150], v[97:98], v[105:106]
	s_waitcnt lgkmcnt(4)
	v_mul_f64 v[105:106], v[153:154], v[95:96]
	v_add_f64 v[147:148], v[8:9], -v[147:148]
	v_fma_f64 v[149:150], v[151:152], v[93:94], -v[105:106]
	v_mul_f64 v[105:106], v[151:152], v[95:96]
	v_fma_f64 v[8:9], v[8:9], 2.0, -v[147:148]
	v_add_f64 v[149:150], v[143:144], -v[149:150]
	v_fma_f64 v[151:152], v[153:154], v[93:94], v[105:106]
	s_waitcnt lgkmcnt(3)
	v_mul_f64 v[105:106], v[157:158], v[91:92]
	v_fma_f64 v[143:144], v[143:144], 2.0, -v[149:150]
	v_add_f64 v[151:152], v[145:146], -v[151:152]
	v_fma_f64 v[153:154], v[155:156], v[89:90], -v[105:106]
	v_mul_f64 v[105:106], v[155:156], v[91:92]
	v_fma_f64 v[145:146], v[145:146], 2.0, -v[151:152]
	v_add_f64 v[153:154], v[10:11], -v[153:154]
	v_fma_f64 v[155:156], v[157:158], v[89:90], v[105:106]
	global_load_dwordx4 v[105:108], v[0:1], off offset:224
	global_load_dwordx4 v[113:116], v[0:1], off offset:208
	;; [unrolled: 1-line block ×3, first 2 shown]
	v_add_f64 v[157:158], v[127:128], -v[175:176]
	v_add_f64 v[175:176], v[2:3], -v[177:178]
	;; [unrolled: 1-line block ×3, first 2 shown]
	s_waitcnt vmcnt(0) lgkmcnt(0)
	s_barrier
	v_fma_f64 v[10:11], v[10:11], 2.0, -v[153:154]
	v_add_f64 v[155:156], v[159:160], -v[155:156]
	v_fma_f64 v[127:128], v[127:128], 2.0, -v[157:158]
	v_add_f64 v[153:154], v[157:158], v[153:154]
	v_fma_f64 v[2:3], v[2:3], 2.0, -v[175:176]
	v_fma_f64 v[4:5], v[4:5], 2.0, -v[177:178]
	;; [unrolled: 1-line block ×4, first 2 shown]
	v_add_f64 v[159:160], v[127:128], -v[159:160]
	v_fma_f64 v[127:128], v[127:128], 2.0, -v[159:160]
	v_mul_f64 v[0:1], v[139:140], v[123:124]
	v_fma_f64 v[0:1], v[137:138], v[121:122], -v[0:1]
	v_mul_f64 v[137:138], v[137:138], v[123:124]
	v_add_f64 v[0:1], v[161:162], -v[0:1]
	v_fma_f64 v[137:138], v[139:140], v[121:122], v[137:138]
	v_mul_f64 v[139:140], v[135:136], v[115:116]
	v_fma_f64 v[161:162], v[161:162], 2.0, -v[0:1]
	v_add_f64 v[137:138], v[163:164], -v[137:138]
	v_fma_f64 v[139:140], v[133:134], v[113:114], -v[139:140]
	v_mul_f64 v[133:134], v[133:134], v[115:116]
	v_add_f64 v[0:1], v[177:178], v[0:1]
	v_add_f64 v[161:162], v[2:3], -v[161:162]
	v_fma_f64 v[163:164], v[163:164], 2.0, -v[137:138]
	v_add_f64 v[139:140], v[165:166], -v[139:140]
	v_fma_f64 v[133:134], v[135:136], v[113:114], v[133:134]
	v_mul_f64 v[135:136], v[131:132], v[107:108]
	v_add_f64 v[137:138], v[175:176], -v[137:138]
	v_fma_f64 v[177:178], v[177:178], 2.0, -v[0:1]
	v_fma_f64 v[2:3], v[2:3], 2.0, -v[161:162]
	v_add_f64 v[163:164], v[4:5], -v[163:164]
	v_fma_f64 v[165:166], v[165:166], 2.0, -v[139:140]
	v_add_f64 v[133:134], v[167:168], -v[133:134]
	v_fma_f64 v[135:136], v[129:130], v[105:106], -v[135:136]
	v_mul_f64 v[129:130], v[129:130], v[107:108]
	v_add_f64 v[139:140], v[147:148], v[139:140]
	v_fma_f64 v[175:176], v[175:176], 2.0, -v[137:138]
	v_fma_f64 v[4:5], v[4:5], 2.0, -v[163:164]
	;; [unrolled: 1-line block ×3, first 2 shown]
	v_add_f64 v[135:136], v[169:170], -v[135:136]
	v_fma_f64 v[129:130], v[131:132], v[105:106], v[129:130]
	v_add_f64 v[131:132], v[125:126], -v[173:174]
	v_add_f64 v[173:174], v[6:7], -v[181:182]
	v_fma_f64 v[147:148], v[147:148], 2.0, -v[139:140]
	v_add_f64 v[167:168], v[8:9], -v[167:168]
	v_fma_f64 v[169:170], v[169:170], 2.0, -v[135:136]
	;; [unrolled: 2-line block ×3, first 2 shown]
	v_fma_f64 v[6:7], v[6:7], 2.0, -v[173:174]
	v_add_f64 v[155:156], v[131:132], -v[155:156]
	v_add_f64 v[133:134], v[173:174], -v[133:134]
	v_add_f64 v[135:136], v[151:152], v[135:136]
	v_fma_f64 v[8:9], v[8:9], 2.0, -v[167:168]
	v_add_f64 v[169:170], v[143:144], -v[169:170]
	v_fma_f64 v[171:172], v[171:172], 2.0, -v[129:130]
	v_add_f64 v[10:11], v[125:126], -v[10:11]
	v_add_f64 v[165:166], v[6:7], -v[165:166]
	v_fma_f64 v[131:132], v[131:132], 2.0, -v[155:156]
	v_fma_f64 v[173:174], v[173:174], 2.0, -v[133:134]
	v_add_f64 v[129:130], v[149:150], -v[129:130]
	v_add_f64 v[8:9], v[127:128], -v[8:9]
	v_fma_f64 v[151:152], v[151:152], 2.0, -v[135:136]
	v_add_f64 v[171:172], v[145:146], -v[171:172]
	v_fma_f64 v[125:126], v[125:126], 2.0, -v[10:11]
	v_fma_f64 v[6:7], v[6:7], 2.0, -v[165:166]
	;; [unrolled: 1-line block ×3, first 2 shown]
	v_add_f64 v[185:186], v[10:11], -v[167:168]
	v_fma_f64 v[149:150], v[149:150], 2.0, -v[129:130]
	v_fma_f64 v[181:182], v[127:128], 2.0, -v[8:9]
	v_fma_f64 v[127:128], v[147:148], s[2:3], v[157:158]
	v_fma_f64 v[145:146], v[145:146], 2.0, -v[171:172]
	v_add_f64 v[187:188], v[159:160], v[165:166]
	v_add_f64 v[6:7], v[125:126], -v[6:7]
	v_add_f64 v[167:168], v[2:3], -v[143:144]
	v_fma_f64 v[10:11], v[10:11], 2.0, -v[185:186]
	v_add_f64 v[193:194], v[4:5], -v[145:146]
	v_fma_f64 v[159:160], v[159:160], 2.0, -v[187:188]
	v_fma_f64 v[179:180], v[125:126], 2.0, -v[6:7]
	v_fma_f64 v[125:126], v[173:174], s[2:3], v[131:132]
	v_fma_f64 v[173:174], v[173:174], s[4:5], v[127:128]
	v_fma_f64 v[127:128], v[139:140], s[4:5], v[153:154]
	v_fma_f64 v[2:3], v[2:3], 2.0, -v[167:168]
	v_fma_f64 v[4:5], v[4:5], 2.0, -v[193:194]
	v_fma_f64 v[183:184], v[147:148], s[2:3], v[125:126]
	v_fma_f64 v[125:126], v[133:134], s[4:5], v[155:156]
	v_fma_f64 v[191:192], v[133:134], s[4:5], v[127:128]
	v_fma_f64 v[127:128], v[151:152], s[2:3], v[177:178]
	v_fma_f64 v[157:158], v[157:158], 2.0, -v[173:174]
	v_fma_f64 v[147:148], v[131:132], 2.0, -v[183:184]
	v_fma_f64 v[189:190], v[139:140], s[2:3], v[125:126]
	;; [unrolled: 6-line block ×3, first 2 shown]
	v_fma_f64 v[133:134], v[177:178], 2.0, -v[197:198]
	v_add_f64 v[177:178], v[161:162], -v[171:172]
	v_fma_f64 v[125:126], v[129:130], s[4:5], v[137:138]
	v_fma_f64 v[205:206], v[129:130], s[4:5], v[127:128]
	v_add_f64 v[127:128], v[181:182], -v[4:5]
	v_fma_f64 v[139:140], v[175:176], 2.0, -v[195:196]
	v_add_f64 v[175:176], v[163:164], v[169:170]
	v_fma_f64 v[145:146], v[161:162], 2.0, -v[177:178]
	v_fma_f64 v[199:200], v[135:136], s[2:3], v[125:126]
	v_add_f64 v[125:126], v[179:180], -v[2:3]
	v_fma_f64 v[4:5], v[133:134], s[14:15], v[157:158]
	v_fma_f64 v[0:1], v[0:1], 2.0, -v[205:206]
	v_add_f64 v[161:162], v[8:9], v[167:168]
	v_fma_f64 v[2:3], v[139:140], s[14:15], v[147:148]
	v_fma_f64 v[143:144], v[163:164], 2.0, -v[175:176]
	v_fma_f64 v[131:132], v[181:182], 2.0, -v[127:128]
	;; [unrolled: 1-line block ×4, first 2 shown]
	v_fma_f64 v[135:136], v[139:140], s[8:9], v[4:5]
	v_fma_f64 v[133:134], v[133:134], s[6:7], v[2:3]
	;; [unrolled: 1-line block ×4, first 2 shown]
	v_fma_f64 v[139:140], v[157:158], 2.0, -v[135:136]
	v_fma_f64 v[137:138], v[147:148], 2.0, -v[133:134]
	v_fma_f64 v[143:144], v[143:144], s[2:3], v[2:3]
	v_fma_f64 v[2:3], v[153:154], s[6:7], v[155:156]
	;; [unrolled: 1-line block ×4, first 2 shown]
	v_fma_f64 v[147:148], v[10:11], 2.0, -v[143:144]
	v_fma_f64 v[151:152], v[0:1], s[14:15], v[2:3]
	v_fma_f64 v[0:1], v[195:196], s[8:9], v[183:184]
	;; [unrolled: 1-line block ×4, first 2 shown]
	v_fma_f64 v[149:150], v[159:160], 2.0, -v[145:146]
	v_add_f64 v[159:160], v[6:7], -v[193:194]
	v_fma_f64 v[155:156], v[155:156], 2.0, -v[151:152]
	v_fma_f64 v[167:168], v[197:198], s[14:15], v[0:1]
	v_fma_f64 v[169:170], v[195:196], s[16:17], v[2:3]
	;; [unrolled: 1-line block ×4, first 2 shown]
	v_fma_f64 v[157:158], v[165:166], 2.0, -v[153:154]
	v_fma_f64 v[163:164], v[6:7], 2.0, -v[159:160]
	;; [unrolled: 1-line block ×5, first 2 shown]
	v_fma_f64 v[175:176], v[175:176], s[2:3], v[0:1]
	v_fma_f64 v[177:178], v[177:178], s[4:5], v[2:3]
	;; [unrolled: 1-line block ×4, first 2 shown]
	v_fma_f64 v[179:180], v[185:186], 2.0, -v[175:176]
	v_fma_f64 v[181:182], v[187:188], 2.0, -v[177:178]
	v_fma_f64 v[183:184], v[205:206], s[6:7], v[0:1]
	v_fma_f64 v[185:186], v[199:200], s[8:9], v[2:3]
	v_or_b32_e32 v0, v203, v253
	v_and_b32_e32 v0, 0xf0f, v0
	v_lshlrev_b32_e32 v220, 4, v0
	v_mad_u64_u32 v[0:1], s[10:11], v253, s20, v[141:142]
	v_fma_f64 v[187:188], v[189:190], 2.0, -v[183:184]
	v_fma_f64 v[189:190], v[191:192], 2.0, -v[185:186]
	ds_write_b128 v220, v[129:132]
	ds_write_b128 v220, v[137:140] offset:256
	ds_write_b128 v220, v[147:150] offset:512
	;; [unrolled: 1-line block ×15, first 2 shown]
	s_waitcnt lgkmcnt(0)
	s_barrier
	ds_read_b128 v[185:188], v203
	ds_read_b128 v[125:128], v203 offset:4096
	ds_read_b128 v[133:136], v203 offset:8192
	ds_read_b128 v[149:152], v203 offset:12288
	ds_read_b128 v[153:156], v203 offset:16384
	ds_read_b128 v[161:164], v203 offset:20480
	ds_read_b128 v[169:172], v203 offset:24576
	ds_read_b128 v[221:224], v203 offset:28672
	ds_read_b128 v[225:228], v203 offset:32768
	ds_read_b128 v[229:232], v203 offset:36864
	ds_read_b128 v[181:184], v203 offset:40960
	ds_read_b128 v[177:180], v203 offset:45056
	ds_read_b128 v[173:176], v203 offset:49152
	ds_read_b128 v[197:200], v203 offset:53248
	ds_read_b128 v[193:196], v203 offset:57344
	ds_read_b128 v[189:192], v203 offset:61440
	global_load_dwordx4 v[129:132], v[0:1], off offset:3888
	global_load_dwordx4 v[137:140], v[0:1], off offset:3872
	;; [unrolled: 1-line block ×4, first 2 shown]
	s_waitcnt vmcnt(2) lgkmcnt(12)
	v_mul_f64 v[10:11], v[151:152], v[139:140]
	s_waitcnt vmcnt(1)
	v_mul_f64 v[6:7], v[135:136], v[147:148]
	s_waitcnt vmcnt(0)
	v_mul_f64 v[2:3], v[127:128], v[159:160]
	v_mul_f64 v[4:5], v[125:126], v[159:160]
	;; [unrolled: 1-line block ×3, first 2 shown]
	v_fma_f64 v[10:11], v[149:150], v[137:138], -v[10:11]
	v_fma_f64 v[6:7], v[133:134], v[145:146], -v[6:7]
	;; [unrolled: 1-line block ×3, first 2 shown]
	v_mul_f64 v[125:126], v[149:150], v[139:140]
	v_fma_f64 v[4:5], v[127:128], v[157:158], v[4:5]
	v_fma_f64 v[8:9], v[135:136], v[145:146], v[8:9]
	;; [unrolled: 1-line block ×3, first 2 shown]
	s_waitcnt lgkmcnt(11)
	v_mul_f64 v[125:126], v[155:156], v[131:132]
	v_fma_f64 v[207:208], v[153:154], v[129:130], -v[125:126]
	v_mul_f64 v[125:126], v[153:154], v[131:132]
	v_fma_f64 v[233:234], v[155:156], v[129:130], v[125:126]
	global_load_dwordx4 v[125:128], v[0:1], off offset:3952
	global_load_dwordx4 v[133:136], v[0:1], off offset:3936
	;; [unrolled: 1-line block ×4, first 2 shown]
	s_waitcnt vmcnt(0) lgkmcnt(10)
	v_mul_f64 v[149:150], v[163:164], v[167:168]
	v_fma_f64 v[235:236], v[161:162], v[165:166], -v[149:150]
	v_mul_f64 v[149:150], v[161:162], v[167:168]
	v_fma_f64 v[237:238], v[163:164], v[165:166], v[149:150]
	s_waitcnt lgkmcnt(9)
	v_mul_f64 v[149:150], v[171:172], v[143:144]
	v_fma_f64 v[239:240], v[169:170], v[141:142], -v[149:150]
	v_mul_f64 v[149:150], v[169:170], v[143:144]
	v_fma_f64 v[241:242], v[171:172], v[141:142], v[149:150]
	s_waitcnt lgkmcnt(8)
	;; [unrolled: 5-line block ×3, first 2 shown]
	v_mul_f64 v[149:150], v[227:228], v[127:128]
	v_fma_f64 v[223:224], v[225:226], v[125:126], -v[149:150]
	v_mul_f64 v[149:150], v[225:226], v[127:128]
	v_fma_f64 v[225:226], v[227:228], v[125:126], v[149:150]
	global_load_dwordx4 v[149:152], v[0:1], off offset:4016
	global_load_dwordx4 v[153:156], v[0:1], off offset:4000
	;; [unrolled: 1-line block ×4, first 2 shown]
	s_waitcnt vmcnt(0) lgkmcnt(6)
	v_mul_f64 v[227:228], v[231:232], v[171:172]
	v_fma_f64 v[227:228], v[229:230], v[169:170], -v[227:228]
	v_mul_f64 v[229:230], v[229:230], v[171:172]
	v_add_f64 v[227:228], v[12:13], -v[227:228]
	v_fma_f64 v[229:230], v[231:232], v[169:170], v[229:230]
	s_waitcnt lgkmcnt(5)
	v_mul_f64 v[231:232], v[183:184], v[163:164]
	v_fma_f64 v[12:13], v[12:13], 2.0, -v[227:228]
	v_add_f64 v[229:230], v[4:5], -v[229:230]
	v_fma_f64 v[231:232], v[181:182], v[161:162], -v[231:232]
	v_mul_f64 v[181:182], v[181:182], v[163:164]
	v_fma_f64 v[4:5], v[4:5], 2.0, -v[229:230]
	v_add_f64 v[231:232], v[6:7], -v[231:232]
	v_fma_f64 v[245:246], v[183:184], v[161:162], v[181:182]
	s_waitcnt lgkmcnt(4)
	v_mul_f64 v[181:182], v[179:180], v[155:156]
	v_fma_f64 v[6:7], v[6:7], 2.0, -v[231:232]
	v_fma_f64 v[247:248], v[177:178], v[153:154], -v[181:182]
	v_mul_f64 v[177:178], v[177:178], v[155:156]
	v_fma_f64 v[249:250], v[179:180], v[153:154], v[177:178]
	s_waitcnt lgkmcnt(3)
	v_mul_f64 v[177:178], v[175:176], v[151:152]
	v_fma_f64 v[251:252], v[173:174], v[149:150], -v[177:178]
	v_mul_f64 v[173:174], v[173:174], v[151:152]
	v_fma_f64 v[2:3], v[175:176], v[149:150], v[173:174]
	global_load_dwordx4 v[173:176], v[0:1], off offset:4064
	global_load_dwordx4 v[177:180], v[0:1], off offset:4048
	;; [unrolled: 1-line block ×3, first 2 shown]
	v_add_f64 v[2:3], v[233:234], -v[2:3]
	s_waitcnt vmcnt(0) lgkmcnt(2)
	v_mul_f64 v[0:1], v[199:200], v[183:184]
	v_mul_f64 v[15:16], v[197:198], v[183:184]
	v_fma_f64 v[0:1], v[197:198], v[181:182], -v[0:1]
	s_waitcnt lgkmcnt(1)
	v_mul_f64 v[197:198], v[195:196], v[179:180]
	v_fma_f64 v[15:16], v[199:200], v[181:182], v[15:16]
	v_add_f64 v[199:200], v[187:188], -v[225:226]
	v_fma_f64 v[225:226], v[233:234], 2.0, -v[2:3]
	v_add_f64 v[233:234], v[8:9], -v[245:246]
	v_add_f64 v[245:246], v[10:11], -v[247:248]
	;; [unrolled: 1-line block ×4, first 2 shown]
	v_fma_f64 v[197:198], v[193:194], v[177:178], -v[197:198]
	v_mul_f64 v[193:194], v[193:194], v[179:180]
	v_fma_f64 v[187:188], v[187:188], 2.0, -v[199:200]
	v_add_f64 v[15:16], v[237:238], -v[15:16]
	v_fma_f64 v[8:9], v[8:9], 2.0, -v[233:234]
	v_fma_f64 v[10:11], v[10:11], 2.0, -v[245:246]
	;; [unrolled: 1-line block ×4, first 2 shown]
	v_add_f64 v[197:198], v[239:240], -v[197:198]
	v_fma_f64 v[193:194], v[195:196], v[177:178], v[193:194]
	s_waitcnt lgkmcnt(0)
	v_mul_f64 v[195:196], v[191:192], v[175:176]
	v_add_f64 v[225:226], v[187:188], -v[225:226]
	v_fma_f64 v[237:238], v[237:238], 2.0, -v[15:16]
	v_add_f64 v[15:16], v[227:228], -v[15:16]
	v_add_f64 v[0:1], v[229:230], v[0:1]
	v_add_f64 v[235:236], v[12:13], -v[235:236]
	v_fma_f64 v[239:240], v[239:240], 2.0, -v[197:198]
	v_add_f64 v[193:194], v[241:242], -v[193:194]
	v_fma_f64 v[195:196], v[189:190], v[173:174], -v[195:196]
	v_mul_f64 v[189:190], v[189:190], v[175:176]
	v_fma_f64 v[187:188], v[187:188], 2.0, -v[225:226]
	v_add_f64 v[197:198], v[233:234], v[197:198]
	v_add_f64 v[237:238], v[4:5], -v[237:238]
	v_fma_f64 v[227:228], v[227:228], 2.0, -v[15:16]
	v_add_f64 v[239:240], v[6:7], -v[239:240]
	v_fma_f64 v[241:242], v[241:242], 2.0, -v[193:194]
	v_add_f64 v[193:194], v[231:232], -v[193:194]
	v_fma_f64 v[189:190], v[191:192], v[173:174], v[189:190]
	v_add_f64 v[191:192], v[185:186], -v[223:224]
	v_add_f64 v[223:224], v[207:208], -v[251:252]
	v_add_f64 v[195:196], v[243:244], -v[195:196]
	v_fma_f64 v[233:234], v[233:234], 2.0, -v[197:198]
	v_fma_f64 v[6:7], v[6:7], 2.0, -v[239:240]
	v_add_f64 v[241:242], v[8:9], -v[241:242]
	v_fma_f64 v[231:232], v[231:232], 2.0, -v[193:194]
	v_add_f64 v[189:190], v[221:222], -v[189:190]
	v_fma_f64 v[185:186], v[185:186], 2.0, -v[191:192]
	v_fma_f64 v[207:208], v[207:208], 2.0, -v[223:224]
	v_add_f64 v[2:3], v[191:192], -v[2:3]
	v_add_f64 v[223:224], v[199:200], v[223:224]
	v_fma_f64 v[243:244], v[243:244], 2.0, -v[195:196]
	v_fma_f64 v[8:9], v[8:9], 2.0, -v[241:242]
	v_add_f64 v[195:196], v[247:248], v[195:196]
	v_fma_f64 v[221:222], v[221:222], 2.0, -v[189:190]
	v_add_f64 v[189:190], v[245:246], -v[189:190]
	v_add_f64 v[207:208], v[185:186], -v[207:208]
	v_fma_f64 v[191:192], v[191:192], 2.0, -v[2:3]
	v_fma_f64 v[199:200], v[199:200], 2.0, -v[223:224]
	;; [unrolled: 1-line block ×3, first 2 shown]
	v_add_f64 v[21:22], v[187:188], -v[8:9]
	v_fma_f64 v[229:230], v[229:230], 2.0, -v[0:1]
	v_add_f64 v[221:222], v[205:206], -v[221:222]
	v_fma_f64 v[245:246], v[245:246], 2.0, -v[189:190]
	v_fma_f64 v[185:186], v[185:186], 2.0, -v[207:208]
	v_add_f64 v[243:244], v[10:11], -v[243:244]
	v_fma_f64 v[247:248], v[247:248], 2.0, -v[195:196]
	v_fma_f64 v[12:13], v[12:13], 2.0, -v[235:236]
	;; [unrolled: 1-line block ×3, first 2 shown]
	v_fma_f64 v[187:188], v[233:234], s[2:3], v[199:200]
	v_fma_f64 v[205:206], v[205:206], 2.0, -v[221:222]
	v_add_f64 v[17:18], v[207:208], -v[241:242]
	v_add_f64 v[25:26], v[185:186], -v[6:7]
	v_fma_f64 v[10:11], v[10:11], 2.0, -v[243:244]
	v_add_f64 v[23:24], v[225:226], v[239:240]
	v_fma_f64 v[19:20], v[231:232], s[4:5], v[187:188]
	v_fma_f64 v[187:188], v[197:198], s[4:5], v[223:224]
	v_add_f64 v[205:206], v[4:5], -v[205:206]
	v_fma_f64 v[249:250], v[185:186], 2.0, -v[25:26]
	v_fma_f64 v[185:186], v[231:232], s[2:3], v[191:192]
	v_add_f64 v[241:242], v[12:13], -v[10:11]
	v_add_f64 v[10:11], v[235:236], -v[221:222]
	v_fma_f64 v[207:208], v[207:208], 2.0, -v[17:18]
	v_fma_f64 v[199:200], v[199:200], 2.0, -v[19:20]
	v_fma_f64 v[27:28], v[193:194], s[4:5], v[187:188]
	v_fma_f64 v[187:188], v[247:248], s[2:3], v[229:230]
	v_fma_f64 v[4:5], v[4:5], 2.0, -v[205:206]
	v_fma_f64 v[8:9], v[233:234], s[2:3], v[185:186]
	v_fma_f64 v[185:186], v[193:194], s[4:5], v[2:3]
	v_fma_f64 v[12:13], v[12:13], 2.0, -v[241:242]
	v_fma_f64 v[31:32], v[235:236], 2.0, -v[10:11]
	;; [unrolled: 1-line block ×5, first 2 shown]
	v_fma_f64 v[29:30], v[197:198], s[2:3], v[185:186]
	v_fma_f64 v[185:186], v[245:246], s[2:3], v[227:228]
	;; [unrolled: 1-line block ×4, first 2 shown]
	v_fma_f64 v[33:34], v[2:3], 2.0, -v[29:30]
	v_fma_f64 v[247:248], v[247:248], s[2:3], v[185:186]
	v_fma_f64 v[185:186], v[189:190], s[4:5], v[15:16]
	v_fma_f64 v[193:194], v[229:230], 2.0, -v[245:246]
	v_add_f64 v[2:3], v[237:238], v[243:244]
	v_fma_f64 v[35:36], v[189:190], s[4:5], v[187:188]
	v_add_f64 v[187:188], v[251:252], -v[4:5]
	v_fma_f64 v[197:198], v[227:228], 2.0, -v[247:248]
	v_fma_f64 v[6:7], v[195:196], s[2:3], v[185:186]
	v_add_f64 v[185:186], v[249:250], -v[12:13]
	v_fma_f64 v[221:222], v[237:238], 2.0, -v[2:3]
	v_fma_f64 v[12:13], v[193:194], s[14:15], v[199:200]
	v_fma_f64 v[0:1], v[0:1], 2.0, -v[35:36]
	v_add_f64 v[237:238], v[25:26], -v[205:206]
	v_fma_f64 v[191:192], v[251:252], 2.0, -v[187:188]
	v_fma_f64 v[4:5], v[197:198], s[14:15], v[231:232]
	v_fma_f64 v[15:16], v[15:16], 2.0, -v[6:7]
	v_fma_f64 v[189:190], v[249:250], 2.0, -v[185:186]
	v_fma_f64 v[195:196], v[197:198], s[8:9], v[12:13]
	v_fma_f64 v[12:13], v[221:222], s[2:3], v[233:234]
	;; [unrolled: 1-line block ×4, first 2 shown]
	v_fma_f64 v[199:200], v[199:200], 2.0, -v[195:196]
	v_fma_f64 v[223:224], v[31:32], s[4:5], v[12:13]
	v_fma_f64 v[12:13], v[0:1], s[6:7], v[239:240]
	v_fma_f64 v[197:198], v[231:232], 2.0, -v[193:194]
	v_fma_f64 v[221:222], v[221:222], s[2:3], v[4:5]
	v_fma_f64 v[4:5], v[15:16], s[6:7], v[33:34]
	v_fma_f64 v[227:228], v[233:234], 2.0, -v[223:224]
	v_fma_f64 v[231:232], v[15:16], s[16:17], v[12:13]
	v_fma_f64 v[225:226], v[207:208], 2.0, -v[221:222]
	v_fma_f64 v[229:230], v[0:1], s[14:15], v[4:5]
	v_fma_f64 v[0:1], v[247:248], s[8:9], v[8:9]
	;; [unrolled: 1-line block ×3, first 2 shown]
	v_fma_f64 v[235:236], v[239:240], 2.0, -v[231:232]
	v_add_f64 v[239:240], v[21:22], v[241:242]
	v_fma_f64 v[241:242], v[25:26], 2.0, -v[237:238]
	v_fma_f64 v[233:234], v[33:34], 2.0, -v[229:230]
	v_fma_f64 v[245:246], v[245:246], s[14:15], v[0:1]
	v_fma_f64 v[0:1], v[10:11], s[4:5], v[17:18]
	;; [unrolled: 1-line block ×4, first 2 shown]
	v_fma_f64 v[243:244], v[21:22], 2.0, -v[239:240]
	v_fma_f64 v[249:250], v[8:9], 2.0, -v[245:246]
	v_fma_f64 v[205:206], v[2:3], s[2:3], v[0:1]
	v_fma_f64 v[0:1], v[6:7], s[16:17], v[29:30]
	v_fma_f64 v[2:3], v[35:36], s[16:17], v[27:28]
	v_fma_f64 v[207:208], v[10:11], s[4:5], v[4:5]
	v_fma_f64 v[251:252], v[19:20], 2.0, -v[247:248]
	v_fma_f64 v[8:9], v[17:18], 2.0, -v[205:206]
	v_fma_f64 v[0:1], v[35:36], s[6:7], v[0:1]
	v_fma_f64 v[2:3], v[6:7], s[8:9], v[2:3]
	v_fma_f64 v[10:11], v[23:24], 2.0, -v[207:208]
	v_fma_f64 v[4:5], v[29:30], 2.0, -v[0:1]
	;; [unrolled: 1-line block ×3, first 2 shown]
	ds_write_b128 v203, v[189:192]
	ds_write_b128 v203, v[197:200] offset:4096
	ds_write_b128 v203, v[225:228] offset:8192
	;; [unrolled: 1-line block ×15, first 2 shown]
	s_waitcnt lgkmcnt(0)
	s_barrier
	ds_read_b128 v[0:3], v203
	global_load_dwordx4 v[4:7], v203, s[18:19]
	s_waitcnt vmcnt(0) lgkmcnt(0)
	v_mul_f64 v[8:9], v[2:3], v[6:7]
	v_fma_f64 v[8:9], v[0:1], v[4:5], -v[8:9]
	v_mul_f64 v[0:1], v[0:1], v[6:7]
	v_fma_f64 v[10:11], v[2:3], v[4:5], v[0:1]
	v_or_b32_e32 v4, 0x1000, v203
	global_load_dwordx4 v[4:7], v4, s[18:19]
	ds_read_b128 v[0:3], v203 offset:4096
	ds_write_b128 v203, v[8:11]
	s_waitcnt vmcnt(0) lgkmcnt(1)
	v_mul_f64 v[8:9], v[2:3], v[6:7]
	v_fma_f64 v[8:9], v[0:1], v[4:5], -v[8:9]
	v_mul_f64 v[0:1], v[0:1], v[6:7]
	v_fma_f64 v[10:11], v[2:3], v[4:5], v[0:1]
	global_load_dwordx4 v[4:7], v218, s[18:19]
	ds_read_b128 v[0:3], v203 offset:8192
	ds_write_b128 v203, v[8:11] offset:4096
	s_waitcnt vmcnt(0) lgkmcnt(1)
	v_mul_f64 v[8:9], v[2:3], v[6:7]
	v_fma_f64 v[8:9], v[0:1], v[4:5], -v[8:9]
	v_mul_f64 v[0:1], v[0:1], v[6:7]
	v_fma_f64 v[10:11], v[2:3], v[4:5], v[0:1]
	global_load_dwordx4 v[4:7], v219, s[18:19]
	ds_read_b128 v[0:3], v203 offset:12288
	ds_write_b128 v203, v[8:11] offset:8192
	;; [unrolled: 8-line block ×3, first 2 shown]
	s_waitcnt vmcnt(0) lgkmcnt(1)
	v_mul_f64 v[8:9], v[2:3], v[6:7]
	v_fma_f64 v[8:9], v[0:1], v[4:5], -v[8:9]
	v_mul_f64 v[0:1], v[0:1], v[6:7]
	v_fma_f64 v[10:11], v[2:3], v[4:5], v[0:1]
	v_or_b32_e32 v4, 0x5000, v203
	global_load_dwordx4 v[4:7], v4, s[18:19]
	ds_read_b128 v[0:3], v203 offset:20480
	ds_write_b128 v203, v[8:11] offset:16384
	s_waitcnt vmcnt(0) lgkmcnt(1)
	v_mul_f64 v[8:9], v[2:3], v[6:7]
	v_fma_f64 v[8:9], v[0:1], v[4:5], -v[8:9]
	v_mul_f64 v[0:1], v[0:1], v[6:7]
	v_fma_f64 v[10:11], v[2:3], v[4:5], v[0:1]
	global_load_dwordx4 v[4:7], v255, s[18:19]
	ds_read_b128 v[0:3], v203 offset:24576
	ds_write_b128 v203, v[8:11] offset:20480
	s_waitcnt vmcnt(0) lgkmcnt(1)
	v_mul_f64 v[8:9], v[2:3], v[6:7]
	v_fma_f64 v[8:9], v[0:1], v[4:5], -v[8:9]
	v_mul_f64 v[0:1], v[0:1], v[6:7]
	v_fma_f64 v[10:11], v[2:3], v[4:5], v[0:1]
	;; [unrolled: 8-line block ×3, first 2 shown]
	v_or_b32_e32 v4, 0x8000, v203
	global_load_dwordx4 v[4:7], v4, s[18:19]
	ds_read_b128 v[0:3], v203 offset:32768
	ds_write_b128 v203, v[8:11] offset:28672
	s_waitcnt vmcnt(0) lgkmcnt(1)
	v_mul_f64 v[8:9], v[2:3], v[6:7]
	v_fma_f64 v[8:9], v[0:1], v[4:5], -v[8:9]
	v_mul_f64 v[0:1], v[0:1], v[6:7]
	v_fma_f64 v[10:11], v[2:3], v[4:5], v[0:1]
	v_or_b32_e32 v4, 0x9000, v203
	global_load_dwordx4 v[4:7], v4, s[18:19]
	ds_read_b128 v[0:3], v203 offset:36864
	ds_write_b128 v203, v[8:11] offset:32768
	s_waitcnt vmcnt(0) lgkmcnt(1)
	v_mul_f64 v[8:9], v[2:3], v[6:7]
	v_fma_f64 v[8:9], v[0:1], v[4:5], -v[8:9]
	v_mul_f64 v[0:1], v[0:1], v[6:7]
	v_fma_f64 v[10:11], v[2:3], v[4:5], v[0:1]
	;; [unrolled: 9-line block ×7, first 2 shown]
	global_load_dwordx4 v[4:7], v14, s[18:19]
	ds_read_b128 v[0:3], v203 offset:61440
	ds_write_b128 v203, v[8:11] offset:57344
	s_waitcnt vmcnt(0) lgkmcnt(1)
	v_mul_f64 v[8:9], v[2:3], v[6:7]
	v_fma_f64 v[8:9], v[0:1], v[4:5], -v[8:9]
	v_mul_f64 v[0:1], v[0:1], v[6:7]
	v_fma_f64 v[10:11], v[2:3], v[4:5], v[0:1]
	ds_write_b128 v203, v[8:11] offset:61440
	s_waitcnt lgkmcnt(0)
	s_barrier
	ds_read_b128 v[0:3], v203
	ds_read_b128 v[4:7], v203 offset:4096
	ds_read_b128 v[8:11], v203 offset:8192
	;; [unrolled: 1-line block ×15, first 2 shown]
	s_waitcnt lgkmcnt(7)
	v_add_f64 v[12:13], v[0:1], -v[221:222]
	v_add_f64 v[14:15], v[2:3], -v[223:224]
	s_waitcnt lgkmcnt(3)
	v_add_f64 v[16:17], v[189:190], -v[237:238]
	v_add_f64 v[18:19], v[191:192], -v[239:240]
	v_add_f64 v[24:25], v[8:9], -v[229:230]
	v_add_f64 v[26:27], v[10:11], -v[231:232]
	s_waitcnt lgkmcnt(1)
	v_add_f64 v[28:29], v[197:198], -v[245:246]
	v_add_f64 v[30:31], v[199:200], -v[247:248]
	v_fma_f64 v[0:1], v[0:1], 2.0, -v[12:13]
	v_fma_f64 v[2:3], v[2:3], 2.0, -v[14:15]
	;; [unrolled: 1-line block ×8, first 2 shown]
	v_add_f64 v[189:190], v[4:5], -v[225:226]
	v_add_f64 v[191:192], v[6:7], -v[227:228]
	;; [unrolled: 1-line block ×6, first 2 shown]
	s_waitcnt lgkmcnt(0)
	v_add_f64 v[223:224], v[205:206], -v[249:250]
	v_add_f64 v[225:226], v[207:208], -v[251:252]
	;; [unrolled: 1-line block ×6, first 2 shown]
	v_fma_f64 v[4:5], v[4:5], 2.0, -v[189:190]
	v_fma_f64 v[6:7], v[6:7], 2.0, -v[191:192]
	v_fma_f64 v[193:194], v[193:194], 2.0, -v[197:198]
	v_fma_f64 v[195:196], v[195:196], 2.0, -v[199:200]
	v_fma_f64 v[185:186], v[185:186], 2.0, -v[217:218]
	v_fma_f64 v[187:188], v[187:188], 2.0, -v[221:222]
	v_fma_f64 v[205:206], v[205:206], 2.0, -v[223:224]
	v_fma_f64 v[207:208], v[207:208], 2.0, -v[225:226]
	v_fma_f64 v[0:1], v[0:1], 2.0, -v[20:21]
	v_fma_f64 v[2:3], v[2:3], 2.0, -v[22:23]
	v_add_f64 v[18:19], v[12:13], v[18:19]
	v_add_f64 v[16:17], v[14:15], -v[16:17]
	v_fma_f64 v[8:9], v[8:9], 2.0, -v[32:33]
	v_fma_f64 v[10:11], v[10:11], 2.0, -v[34:35]
	v_add_f64 v[30:31], v[24:25], v[30:31]
	v_add_f64 v[28:29], v[26:27], -v[28:29]
	v_add_f64 v[193:194], v[4:5], -v[193:194]
	;; [unrolled: 1-line block ×3, first 2 shown]
	v_fma_f64 v[12:13], v[12:13], 2.0, -v[18:19]
	v_fma_f64 v[14:15], v[14:15], 2.0, -v[16:17]
	v_add_f64 v[205:206], v[185:186], -v[205:206]
	v_add_f64 v[207:208], v[187:188], -v[207:208]
	v_fma_f64 v[24:25], v[24:25], 2.0, -v[30:31]
	v_fma_f64 v[26:27], v[26:27], 2.0, -v[28:29]
	v_add_f64 v[227:228], v[0:1], -v[8:9]
	v_add_f64 v[229:230], v[2:3], -v[10:11]
	v_fma_f64 v[4:5], v[4:5], 2.0, -v[193:194]
	v_fma_f64 v[6:7], v[6:7], 2.0, -v[195:196]
	v_add_f64 v[199:200], v[189:190], v[199:200]
	v_add_f64 v[197:198], v[191:192], -v[197:198]
	v_fma_f64 v[185:186], v[185:186], 2.0, -v[205:206]
	v_fma_f64 v[187:188], v[187:188], 2.0, -v[207:208]
	v_add_f64 v[225:226], v[217:218], v[225:226]
	v_add_f64 v[223:224], v[221:222], -v[223:224]
	v_fma_f64 v[8:9], v[0:1], 2.0, -v[227:228]
	v_fma_f64 v[10:11], v[2:3], 2.0, -v[229:230]
	v_fma_f64 v[0:1], v[24:25], s[2:3], v[12:13]
	v_fma_f64 v[2:3], v[26:27], s[2:3], v[14:15]
	v_fma_f64 v[189:190], v[189:190], 2.0, -v[199:200]
	v_fma_f64 v[191:192], v[191:192], 2.0, -v[197:198]
	;; [unrolled: 1-line block ×4, first 2 shown]
	v_add_f64 v[231:232], v[4:5], -v[185:186]
	v_add_f64 v[233:234], v[6:7], -v[187:188]
	v_fma_f64 v[26:27], v[26:27], s[4:5], v[0:1]
	v_fma_f64 v[24:25], v[24:25], s[2:3], v[2:3]
	;; [unrolled: 1-line block ×4, first 2 shown]
	v_add_f64 v[34:35], v[20:21], v[34:35]
	v_add_f64 v[32:33], v[22:23], -v[32:33]
	v_add_f64 v[239:240], v[193:194], v[207:208]
	v_add_f64 v[237:238], v[195:196], -v[205:206]
	v_fma_f64 v[12:13], v[12:13], 2.0, -v[26:27]
	v_fma_f64 v[14:15], v[14:15], 2.0, -v[24:25]
	v_fma_f64 v[28:29], v[28:29], s[4:5], v[0:1]
	v_fma_f64 v[30:31], v[30:31], s[2:3], v[2:3]
	v_fma_f64 v[0:1], v[4:5], 2.0, -v[231:232]
	v_fma_f64 v[2:3], v[6:7], 2.0, -v[233:234]
	v_fma_f64 v[4:5], v[217:218], s[2:3], v[189:190]
	v_fma_f64 v[6:7], v[221:222], s[2:3], v[191:192]
	v_fma_f64 v[20:21], v[20:21], 2.0, -v[34:35]
	v_fma_f64 v[22:23], v[22:23], 2.0, -v[32:33]
	;; [unrolled: 1-line block ×4, first 2 shown]
	v_add_f64 v[0:1], v[8:9], -v[0:1]
	v_add_f64 v[2:3], v[10:11], -v[2:3]
	v_fma_f64 v[235:236], v[221:222], s[4:5], v[4:5]
	v_fma_f64 v[217:218], v[217:218], s[2:3], v[6:7]
	;; [unrolled: 1-line block ×4, first 2 shown]
	v_add_f64 v[221:222], v[227:228], v[233:234]
	s_barrier
	v_fma_f64 v[185:186], v[189:190], 2.0, -v[235:236]
	v_fma_f64 v[187:188], v[191:192], 2.0, -v[217:218]
	v_fma_f64 v[247:248], v[223:224], s[4:5], v[4:5]
	v_fma_f64 v[245:246], v[225:226], s[2:3], v[6:7]
	v_fma_f64 v[4:5], v[8:9], 2.0, -v[0:1]
	v_fma_f64 v[6:7], v[10:11], 2.0, -v[2:3]
	;; [unrolled: 1-line block ×4, first 2 shown]
	v_fma_f64 v[8:9], v[185:186], s[14:15], v[12:13]
	v_fma_f64 v[10:11], v[187:188], s[14:15], v[14:15]
	v_fma_f64 v[199:200], v[199:200], 2.0, -v[247:248]
	v_fma_f64 v[197:198], v[197:198], 2.0, -v[245:246]
	v_add_f64 v[223:224], v[229:230], -v[231:232]
	v_fma_f64 v[225:226], v[227:228], 2.0, -v[221:222]
	v_fma_f64 v[8:9], v[187:188], s[8:9], v[8:9]
	v_fma_f64 v[10:11], v[185:186], s[6:7], v[10:11]
	v_fma_f64 v[227:228], v[229:230], 2.0, -v[223:224]
	v_fma_f64 v[185:186], v[12:13], 2.0, -v[8:9]
	;; [unrolled: 1-line block ×3, first 2 shown]
	v_fma_f64 v[12:13], v[191:192], s[2:3], v[20:21]
	v_fma_f64 v[14:15], v[189:190], s[2:3], v[22:23]
	;; [unrolled: 1-line block ×6, first 2 shown]
	v_fma_f64 v[193:194], v[20:21], 2.0, -v[189:190]
	v_fma_f64 v[195:196], v[22:23], 2.0, -v[191:192]
	v_fma_f64 v[197:198], v[197:198], s[16:17], v[12:13]
	v_fma_f64 v[199:200], v[199:200], s[14:15], v[14:15]
	v_fma_f64 v[12:13], v[235:236], s[8:9], v[26:27]
	v_fma_f64 v[14:15], v[217:218], s[8:9], v[24:25]
	v_fma_f64 v[205:206], v[18:19], 2.0, -v[197:198]
	v_fma_f64 v[207:208], v[16:17], 2.0, -v[199:200]
	v_fma_f64 v[229:230], v[217:218], s[16:17], v[12:13]
	v_fma_f64 v[231:232], v[235:236], s[14:15], v[14:15]
	v_fma_f64 v[12:13], v[239:240], s[4:5], v[34:35]
	v_fma_f64 v[14:15], v[237:238], s[4:5], v[32:33]
	;; [unrolled: 6-line block ×3, first 2 shown]
	v_fma_f64 v[241:242], v[34:35], 2.0, -v[237:238]
	v_fma_f64 v[243:244], v[32:33], 2.0, -v[239:240]
	v_fma_f64 v[245:246], v[245:246], s[8:9], v[12:13]
	v_fma_f64 v[247:248], v[247:248], s[6:7], v[14:15]
	v_fma_f64 v[249:250], v[28:29], 2.0, -v[245:246]
	v_fma_f64 v[251:252], v[30:31], 2.0, -v[247:248]
	ds_write_b128 v204, v[4:7]
	ds_write_b128 v204, v[185:188] offset:16
	ds_write_b128 v204, v[193:196] offset:32
	;; [unrolled: 1-line block ×15, first 2 shown]
	s_waitcnt lgkmcnt(0)
	s_barrier
	ds_read_b128 v[0:3], v203
	ds_read_b128 v[4:7], v203 offset:4096
	ds_read_b128 v[8:11], v203 offset:8192
	;; [unrolled: 1-line block ×15, first 2 shown]
	s_waitcnt lgkmcnt(14)
	v_mul_f64 v[12:13], v[103:104], v[6:7]
	s_waitcnt lgkmcnt(12)
	v_mul_f64 v[14:15], v[79:80], v[185:186]
	;; [unrolled: 2-line block ×3, first 2 shown]
	v_mul_f64 v[18:19], v[71:72], v[189:190]
	s_waitcnt lgkmcnt(9)
	v_mul_f64 v[26:27], v[83:84], v[197:198]
	s_waitcnt lgkmcnt(7)
	;; [unrolled: 2-line block ×3, first 2 shown]
	v_mul_f64 v[71:72], v[99:100], v[229:230]
	v_mul_f64 v[24:25], v[83:84], v[199:200]
	v_fma_f64 v[12:13], v[101:102], v[4:5], v[12:13]
	v_mul_f64 v[4:5], v[103:104], v[4:5]
	v_fma_f64 v[14:15], v[77:78], v[187:188], -v[14:15]
	v_fma_f64 v[16:17], v[69:70], v[189:190], v[16:17]
	v_fma_f64 v[18:19], v[69:70], v[191:192], -v[18:19]
	v_fma_f64 v[26:27], v[81:82], v[199:200], -v[26:27]
	v_mul_f64 v[32:33], v[67:68], v[223:224]
	v_fma_f64 v[34:35], v[65:66], v[223:224], -v[34:35]
	v_mul_f64 v[69:70], v[99:100], v[231:232]
	;; [unrolled: 2-line block ×4, first 2 shown]
	v_fma_f64 v[24:25], v[81:82], v[197:198], v[24:25]
	v_mul_f64 v[28:29], v[75:76], v[206:207]
	v_mul_f64 v[30:31], v[75:76], v[204:205]
	v_fma_f64 v[32:33], v[65:66], v[221:222], v[32:33]
	v_mul_f64 v[67:68], v[119:120], v[225:226]
	v_fma_f64 v[6:7], v[85:86], v[8:9], v[6:7]
	v_mul_f64 v[8:9], v[87:88], v[8:9]
	s_waitcnt lgkmcnt(1)
	v_mul_f64 v[87:88], v[115:116], v[245:246]
	v_fma_f64 v[69:70], v[97:98], v[229:230], v[69:70]
	v_mul_f64 v[75:76], v[95:96], v[233:234]
	v_mul_f64 v[83:84], v[123:124], v[241:242]
	v_add_f64 v[34:35], v[2:3], -v[34:35]
	v_mul_f64 v[20:21], v[111:112], v[195:196]
	v_fma_f64 v[22:23], v[109:110], v[195:196], -v[22:23]
	v_fma_f64 v[8:9], v[85:86], v[10:11], -v[8:9]
	v_mul_f64 v[10:11], v[79:80], v[187:188]
	v_mul_f64 v[79:80], v[91:92], v[237:238]
	;; [unrolled: 1-line block ×3, first 2 shown]
	v_fma_f64 v[87:88], v[113:114], v[247:248], -v[87:88]
	v_fma_f64 v[28:29], v[73:74], v[204:205], v[28:29]
	v_fma_f64 v[30:31], v[73:74], v[206:207], -v[30:31]
	v_mul_f64 v[65:66], v[119:120], v[227:228]
	v_add_f64 v[71:72], v[8:9], -v[71:72]
	v_fma_f64 v[10:11], v[77:78], v[185:186], v[10:11]
	v_mul_f64 v[77:78], v[91:92], v[239:240]
	v_fma_f64 v[79:80], v[89:90], v[239:240], -v[79:80]
	v_fma_f64 v[85:86], v[113:114], v[245:246], v[85:86]
	s_waitcnt lgkmcnt(0)
	v_mul_f64 v[91:92], v[107:108], v[249:250]
	v_add_f64 v[87:88], v[26:27], -v[87:88]
	v_fma_f64 v[67:68], v[117:118], v[227:228], -v[67:68]
	v_mul_f64 v[73:74], v[95:96], v[235:236]
	v_fma_f64 v[75:76], v[93:94], v[235:236], -v[75:76]
	v_fma_f64 v[77:78], v[89:90], v[237:238], v[77:78]
	v_add_f64 v[79:80], v[18:19], -v[79:80]
	v_mul_f64 v[81:82], v[123:124], v[243:244]
	v_fma_f64 v[83:84], v[121:122], v[243:244], -v[83:84]
	v_mul_f64 v[89:90], v[107:108], v[251:252]
	v_fma_f64 v[91:92], v[105:106], v[251:252], -v[91:92]
	v_add_f64 v[32:33], v[0:1], -v[32:33]
	v_fma_f64 v[2:3], v[2:3], 2.0, -v[34:35]
	v_add_f64 v[77:78], v[16:17], -v[77:78]
	v_fma_f64 v[18:19], v[18:19], 2.0, -v[79:80]
	;; [unrolled: 2-line block ×4, first 2 shown]
	v_fma_f64 v[20:21], v[109:110], v[193:194], v[20:21]
	v_fma_f64 v[65:66], v[117:118], v[225:226], v[65:66]
	v_fma_f64 v[73:74], v[93:94], v[233:234], v[73:74]
	v_fma_f64 v[81:82], v[121:122], v[241:242], v[81:82]
	v_fma_f64 v[89:90], v[105:106], v[249:250], v[89:90]
	v_fma_f64 v[0:1], v[0:1], 2.0, -v[32:33]
	v_fma_f64 v[16:17], v[16:17], 2.0, -v[77:78]
	;; [unrolled: 1-line block ×4, first 2 shown]
	v_add_f64 v[67:68], v[4:5], -v[67:68]
	v_add_f64 v[83:84], v[22:23], -v[83:84]
	;; [unrolled: 1-line block ×8, first 2 shown]
	v_fma_f64 v[4:5], v[4:5], 2.0, -v[67:68]
	v_fma_f64 v[22:23], v[22:23], 2.0, -v[83:84]
	v_add_f64 v[73:74], v[10:11], -v[73:74]
	v_fma_f64 v[14:15], v[14:15], 2.0, -v[75:76]
	v_add_f64 v[89:90], v[28:29], -v[89:90]
	v_fma_f64 v[30:31], v[30:31], 2.0, -v[91:92]
	v_add_f64 v[16:17], v[0:1], -v[16:17]
	v_fma_f64 v[2:3], v[2:3], 2.0, -v[18:19]
	v_add_f64 v[77:78], v[34:35], -v[77:78]
	v_add_f64 v[24:25], v[6:7], -v[24:25]
	v_fma_f64 v[8:9], v[8:9], 2.0, -v[26:27]
	v_add_f64 v[85:86], v[71:72], -v[85:86]
	v_fma_f64 v[12:13], v[12:13], 2.0, -v[65:66]
	v_fma_f64 v[20:21], v[20:21], 2.0, -v[81:82]
	;; [unrolled: 1-line block ×5, first 2 shown]
	v_add_f64 v[79:80], v[32:33], v[79:80]
	v_fma_f64 v[34:35], v[34:35], 2.0, -v[77:78]
	v_fma_f64 v[6:7], v[6:7], 2.0, -v[24:25]
	v_add_f64 v[87:88], v[69:70], v[87:88]
	v_fma_f64 v[71:72], v[71:72], 2.0, -v[85:86]
	v_add_f64 v[22:23], v[4:5], -v[22:23]
	v_add_f64 v[30:31], v[14:15], -v[30:31]
	;; [unrolled: 1-line block ×3, first 2 shown]
	v_fma_f64 v[32:33], v[32:33], 2.0, -v[79:80]
	v_add_f64 v[20:21], v[12:13], -v[20:21]
	v_add_f64 v[83:84], v[65:66], v[83:84]
	v_fma_f64 v[69:70], v[69:70], 2.0, -v[87:88]
	v_add_f64 v[81:82], v[67:68], -v[81:82]
	v_fma_f64 v[4:5], v[4:5], 2.0, -v[22:23]
	v_add_f64 v[28:29], v[10:11], -v[28:29]
	v_fma_f64 v[14:15], v[14:15], 2.0, -v[30:31]
	v_add_f64 v[91:92], v[73:74], v[91:92]
	v_add_f64 v[89:90], v[75:76], -v[89:90]
	v_add_f64 v[93:94], v[0:1], -v[6:7]
	v_fma_f64 v[8:9], v[2:3], 2.0, -v[95:96]
	v_fma_f64 v[2:3], v[71:72], s[2:3], v[34:35]
	v_fma_f64 v[12:13], v[12:13], 2.0, -v[20:21]
	v_fma_f64 v[65:66], v[65:66], 2.0, -v[83:84]
	;; [unrolled: 1-line block ×7, first 2 shown]
	v_fma_f64 v[0:1], v[69:70], s[2:3], v[32:33]
	v_fma_f64 v[99:100], v[69:70], s[2:3], v[2:3]
	;; [unrolled: 1-line block ×3, first 2 shown]
	v_add_f64 v[14:15], v[4:5], -v[14:15]
	v_add_f64 v[101:102], v[12:13], -v[10:11]
	v_add_f64 v[26:27], v[16:17], v[26:27]
	v_fma_f64 v[10:11], v[75:76], s[2:3], v[67:68]
	v_add_f64 v[24:25], v[18:19], -v[24:25]
	v_fma_f64 v[97:98], v[71:72], s[4:5], v[0:1]
	v_fma_f64 v[0:1], v[87:88], s[4:5], v[79:80]
	;; [unrolled: 1-line block ×3, first 2 shown]
	v_fma_f64 v[2:3], v[4:5], 2.0, -v[14:15]
	v_fma_f64 v[4:5], v[73:74], s[2:3], v[65:66]
	v_fma_f64 v[34:35], v[34:35], 2.0, -v[99:100]
	v_fma_f64 v[103:104], v[73:74], s[2:3], v[10:11]
	v_add_f64 v[30:31], v[20:21], v[30:31]
	v_fma_f64 v[32:33], v[32:33], 2.0, -v[97:98]
	v_fma_f64 v[113:114], v[85:86], s[4:5], v[0:1]
	v_fma_f64 v[0:1], v[12:13], 2.0, -v[101:102]
	v_add_f64 v[2:3], v[8:9], -v[2:3]
	v_fma_f64 v[12:13], v[75:76], s[4:5], v[4:5]
	v_fma_f64 v[4:5], v[91:92], s[4:5], v[83:84]
	v_add_f64 v[28:29], v[22:23], -v[28:29]
	v_fma_f64 v[16:17], v[16:17], 2.0, -v[26:27]
	v_fma_f64 v[18:19], v[18:19], 2.0, -v[24:25]
	;; [unrolled: 1-line block ×3, first 2 shown]
	v_add_f64 v[0:1], v[6:7], -v[0:1]
	v_fma_f64 v[85:86], v[79:80], 2.0, -v[113:114]
	v_fma_f64 v[10:11], v[65:66], 2.0, -v[12:13]
	;; [unrolled: 1-line block ×3, first 2 shown]
	v_fma_f64 v[67:68], v[89:90], s[4:5], v[81:82]
	v_fma_f64 v[111:112], v[89:90], s[4:5], v[4:5]
	v_fma_f64 v[22:23], v[22:23], 2.0, -v[28:29]
	v_fma_f64 v[87:88], v[77:78], 2.0, -v[115:116]
	v_fma_f64 v[4:5], v[6:7], 2.0, -v[0:1]
	v_fma_f64 v[6:7], v[8:9], 2.0, -v[2:3]
	v_fma_f64 v[8:9], v[10:11], s[14:15], v[32:33]
	v_fma_f64 v[109:110], v[91:92], s[2:3], v[67:68]
	;; [unrolled: 1-line block ×3, first 2 shown]
	v_fma_f64 v[79:80], v[83:84], 2.0, -v[111:112]
	s_barrier
	v_fma_f64 v[8:9], v[65:66], s[8:9], v[8:9]
	v_fma_f64 v[77:78], v[81:82], 2.0, -v[109:110]
	v_fma_f64 v[10:11], v[10:11], s[6:7], v[67:68]
	v_fma_f64 v[65:66], v[32:33], 2.0, -v[8:9]
	;; [unrolled: 2-line block ×3, first 2 shown]
	v_fma_f64 v[34:35], v[22:23], s[2:3], v[18:19]
	v_fma_f64 v[69:70], v[22:23], s[4:5], v[32:33]
	;; [unrolled: 1-line block ×3, first 2 shown]
	v_fma_f64 v[73:74], v[16:17], 2.0, -v[69:70]
	v_fma_f64 v[16:17], v[79:80], s[6:7], v[85:86]
	v_fma_f64 v[75:76], v[18:19], 2.0, -v[71:72]
	v_fma_f64 v[18:19], v[77:78], s[6:7], v[87:88]
	v_fma_f64 v[77:78], v[77:78], s[16:17], v[16:17]
	;; [unrolled: 1-line block ×4, first 2 shown]
	v_fma_f64 v[81:82], v[85:86], 2.0, -v[77:78]
	v_add_f64 v[85:86], v[93:94], v[14:15]
	v_fma_f64 v[14:15], v[12:13], s[8:9], v[97:98]
	v_fma_f64 v[83:84], v[87:88], 2.0, -v[79:80]
	v_add_f64 v[87:88], v[95:96], -v[101:102]
	v_fma_f64 v[89:90], v[93:94], 2.0, -v[85:86]
	v_fma_f64 v[93:94], v[103:104], s[16:17], v[14:15]
	v_fma_f64 v[14:15], v[28:29], s[4:5], v[24:25]
	v_fma_f64 v[91:92], v[95:96], 2.0, -v[87:88]
	v_fma_f64 v[95:96], v[12:13], s[14:15], v[16:17]
	v_fma_f64 v[12:13], v[30:31], s[4:5], v[26:27]
	;; [unrolled: 3-line block ×4, first 2 shown]
	v_fma_f64 v[107:108], v[24:25], 2.0, -v[103:104]
	v_fma_f64 v[111:112], v[111:112], s[6:7], v[14:15]
	v_fma_f64 v[105:106], v[26:27], 2.0, -v[101:102]
	v_fma_f64 v[109:110], v[109:110], s[8:9], v[12:13]
	v_fma_f64 v[115:116], v[115:116], 2.0, -v[111:112]
	v_fma_f64 v[113:114], v[113:114], 2.0, -v[109:110]
	ds_write_b128 v220, v[4:7]
	ds_write_b128 v220, v[65:68] offset:256
	ds_write_b128 v220, v[73:76] offset:512
	;; [unrolled: 1-line block ×15, first 2 shown]
	s_waitcnt lgkmcnt(0)
	s_barrier
	ds_read_b128 v[0:3], v203
	ds_read_b128 v[4:7], v203 offset:4096
	ds_read_b128 v[8:11], v203 offset:8192
	;; [unrolled: 1-line block ×15, first 2 shown]
	s_waitcnt lgkmcnt(14)
	v_mul_f64 v[12:13], v[159:160], v[6:7]
	s_waitcnt lgkmcnt(11)
	v_mul_f64 v[18:19], v[131:132], v[69:70]
	;; [unrolled: 2-line block ×4, first 2 shown]
	v_mul_f64 v[14:15], v[139:140], v[65:66]
	v_mul_f64 v[16:17], v[131:132], v[71:72]
	;; [unrolled: 1-line block ×4, first 2 shown]
	v_fma_f64 v[12:13], v[157:158], v[4:5], v[12:13]
	v_mul_f64 v[4:5], v[159:160], v[4:5]
	v_fma_f64 v[18:19], v[129:130], v[71:72], -v[18:19]
	v_fma_f64 v[26:27], v[141:142], v[79:80], -v[26:27]
	;; [unrolled: 1-line block ×3, first 2 shown]
	s_waitcnt lgkmcnt(5)
	v_mul_f64 v[71:72], v[163:164], v[93:94]
	s_waitcnt lgkmcnt(3)
	v_mul_f64 v[79:80], v[151:152], v[101:102]
	;; [unrolled: 2-line block ×3, first 2 shown]
	v_fma_f64 v[14:15], v[137:138], v[67:68], -v[14:15]
	v_fma_f64 v[4:5], v[157:158], v[6:7], -v[4:5]
	v_mul_f64 v[6:7], v[147:148], v[10:11]
	v_fma_f64 v[16:17], v[129:130], v[69:70], v[16:17]
	v_mul_f64 v[22:23], v[167:168], v[73:74]
	v_fma_f64 v[24:25], v[141:142], v[77:78], v[24:25]
	;; [unrolled: 2-line block ×3, first 2 shown]
	v_mul_f64 v[69:70], v[163:164], v[95:96]
	v_fma_f64 v[71:72], v[161:162], v[95:96], -v[71:72]
	v_fma_f64 v[6:7], v[145:146], v[8:9], v[6:7]
	v_mul_f64 v[8:9], v[147:148], v[8:9]
	v_mul_f64 v[77:78], v[151:152], v[103:104]
	v_fma_f64 v[79:80], v[149:150], v[103:104], -v[79:80]
	v_mul_f64 v[85:86], v[179:180], v[111:112]
	v_fma_f64 v[87:88], v[177:178], v[111:112], -v[87:88]
	;; [unrolled: 2-line block ×4, first 2 shown]
	v_mul_f64 v[10:11], v[139:140], v[67:68]
	v_mul_f64 v[67:68], v[171:172], v[89:90]
	v_fma_f64 v[30:31], v[133:134], v[83:84], -v[30:31]
	v_fma_f64 v[69:70], v[161:162], v[93:94], v[69:70]
	v_mul_f64 v[75:76], v[155:156], v[97:98]
	v_fma_f64 v[77:78], v[149:150], v[101:102], v[77:78]
	v_mul_f64 v[83:84], v[183:184], v[105:106]
	v_fma_f64 v[85:86], v[177:178], v[109:110], v[85:86]
	v_fma_f64 v[10:11], v[137:138], v[65:66], v[10:11]
	v_mul_f64 v[65:66], v[171:172], v[91:92]
	v_fma_f64 v[67:68], v[169:170], v[91:92], -v[67:68]
	s_waitcnt lgkmcnt(0)
	v_mul_f64 v[91:92], v[175:176], v[113:114]
	v_add_f64 v[34:35], v[2:3], -v[34:35]
	v_add_f64 v[79:80], v[18:19], -v[79:80]
	;; [unrolled: 1-line block ×4, first 2 shown]
	v_fma_f64 v[20:21], v[165:166], v[73:74], v[20:21]
	v_fma_f64 v[28:29], v[133:134], v[81:82], v[28:29]
	;; [unrolled: 1-line block ×3, first 2 shown]
	v_mul_f64 v[73:74], v[155:156], v[99:100]
	v_fma_f64 v[75:76], v[153:154], v[99:100], -v[75:76]
	v_mul_f64 v[81:82], v[183:184], v[107:108]
	v_fma_f64 v[83:84], v[181:182], v[107:108], -v[83:84]
	;; [unrolled: 2-line block ×3, first 2 shown]
	v_add_f64 v[32:33], v[0:1], -v[32:33]
	v_fma_f64 v[2:3], v[2:3], 2.0, -v[34:35]
	v_add_f64 v[77:78], v[16:17], -v[77:78]
	v_fma_f64 v[18:19], v[18:19], 2.0, -v[79:80]
	;; [unrolled: 2-line block ×4, first 2 shown]
	v_fma_f64 v[73:74], v[153:154], v[97:98], v[73:74]
	v_fma_f64 v[81:82], v[181:182], v[105:106], v[81:82]
	;; [unrolled: 1-line block ×3, first 2 shown]
	v_fma_f64 v[0:1], v[0:1], 2.0, -v[32:33]
	v_fma_f64 v[16:17], v[16:17], 2.0, -v[77:78]
	;; [unrolled: 1-line block ×4, first 2 shown]
	v_add_f64 v[67:68], v[4:5], -v[67:68]
	v_add_f64 v[83:84], v[22:23], -v[83:84]
	;; [unrolled: 1-line block ×8, first 2 shown]
	v_fma_f64 v[4:5], v[4:5], 2.0, -v[67:68]
	v_fma_f64 v[22:23], v[22:23], 2.0, -v[83:84]
	v_add_f64 v[73:74], v[10:11], -v[73:74]
	v_fma_f64 v[14:15], v[14:15], 2.0, -v[75:76]
	v_add_f64 v[89:90], v[28:29], -v[89:90]
	;; [unrolled: 2-line block ×4, first 2 shown]
	v_add_f64 v[24:25], v[6:7], -v[24:25]
	v_fma_f64 v[8:9], v[8:9], 2.0, -v[26:27]
	v_add_f64 v[85:86], v[71:72], -v[85:86]
	v_fma_f64 v[12:13], v[12:13], 2.0, -v[65:66]
	v_fma_f64 v[20:21], v[20:21], 2.0, -v[81:82]
	;; [unrolled: 1-line block ×5, first 2 shown]
	v_add_f64 v[79:80], v[32:33], v[79:80]
	v_fma_f64 v[34:35], v[34:35], 2.0, -v[77:78]
	v_fma_f64 v[6:7], v[6:7], 2.0, -v[24:25]
	v_add_f64 v[87:88], v[69:70], v[87:88]
	v_fma_f64 v[71:72], v[71:72], 2.0, -v[85:86]
	v_add_f64 v[22:23], v[4:5], -v[22:23]
	v_add_f64 v[30:31], v[14:15], -v[30:31]
	;; [unrolled: 1-line block ×3, first 2 shown]
	v_fma_f64 v[32:33], v[32:33], 2.0, -v[79:80]
	v_add_f64 v[20:21], v[12:13], -v[20:21]
	v_add_f64 v[83:84], v[65:66], v[83:84]
	v_fma_f64 v[69:70], v[69:70], 2.0, -v[87:88]
	v_add_f64 v[81:82], v[67:68], -v[81:82]
	v_fma_f64 v[4:5], v[4:5], 2.0, -v[22:23]
	v_add_f64 v[28:29], v[10:11], -v[28:29]
	v_fma_f64 v[14:15], v[14:15], 2.0, -v[30:31]
	v_add_f64 v[91:92], v[73:74], v[91:92]
	v_add_f64 v[89:90], v[75:76], -v[89:90]
	v_add_f64 v[93:94], v[0:1], -v[6:7]
	v_fma_f64 v[8:9], v[2:3], 2.0, -v[95:96]
	v_fma_f64 v[2:3], v[71:72], s[2:3], v[34:35]
	v_fma_f64 v[12:13], v[12:13], 2.0, -v[20:21]
	v_fma_f64 v[65:66], v[65:66], 2.0, -v[83:84]
	v_fma_f64 v[67:68], v[67:68], 2.0, -v[81:82]
	v_fma_f64 v[10:11], v[10:11], 2.0, -v[28:29]
	v_fma_f64 v[73:74], v[73:74], 2.0, -v[91:92]
	v_fma_f64 v[75:76], v[75:76], 2.0, -v[89:90]
	v_fma_f64 v[6:7], v[0:1], 2.0, -v[93:94]
	v_fma_f64 v[0:1], v[69:70], s[2:3], v[32:33]
	v_fma_f64 v[99:100], v[69:70], s[2:3], v[2:3]
	;; [unrolled: 1-line block ×3, first 2 shown]
	v_add_f64 v[14:15], v[4:5], -v[14:15]
	v_add_f64 v[101:102], v[12:13], -v[10:11]
	v_add_f64 v[26:27], v[16:17], v[26:27]
	v_fma_f64 v[10:11], v[75:76], s[2:3], v[67:68]
	v_add_f64 v[24:25], v[18:19], -v[24:25]
	v_fma_f64 v[97:98], v[71:72], s[4:5], v[0:1]
	v_fma_f64 v[0:1], v[87:88], s[4:5], v[79:80]
	;; [unrolled: 1-line block ×3, first 2 shown]
	v_fma_f64 v[2:3], v[4:5], 2.0, -v[14:15]
	v_fma_f64 v[4:5], v[73:74], s[2:3], v[65:66]
	v_fma_f64 v[34:35], v[34:35], 2.0, -v[99:100]
	v_fma_f64 v[103:104], v[73:74], s[2:3], v[10:11]
	v_add_f64 v[30:31], v[20:21], v[30:31]
	v_fma_f64 v[32:33], v[32:33], 2.0, -v[97:98]
	v_fma_f64 v[113:114], v[85:86], s[4:5], v[0:1]
	v_fma_f64 v[0:1], v[12:13], 2.0, -v[101:102]
	v_add_f64 v[2:3], v[8:9], -v[2:3]
	v_fma_f64 v[12:13], v[75:76], s[4:5], v[4:5]
	v_fma_f64 v[4:5], v[91:92], s[4:5], v[83:84]
	v_add_f64 v[28:29], v[22:23], -v[28:29]
	v_fma_f64 v[16:17], v[16:17], 2.0, -v[26:27]
	v_fma_f64 v[18:19], v[18:19], 2.0, -v[24:25]
	;; [unrolled: 1-line block ×3, first 2 shown]
	v_add_f64 v[0:1], v[6:7], -v[0:1]
	v_fma_f64 v[85:86], v[79:80], 2.0, -v[113:114]
	v_fma_f64 v[10:11], v[65:66], 2.0, -v[12:13]
	v_fma_f64 v[65:66], v[67:68], 2.0, -v[103:104]
	v_fma_f64 v[67:68], v[89:90], s[4:5], v[81:82]
	v_fma_f64 v[111:112], v[89:90], s[4:5], v[4:5]
	v_fma_f64 v[22:23], v[22:23], 2.0, -v[28:29]
	v_fma_f64 v[87:88], v[77:78], 2.0, -v[115:116]
	;; [unrolled: 1-line block ×4, first 2 shown]
	v_fma_f64 v[8:9], v[10:11], s[14:15], v[32:33]
	v_fma_f64 v[109:110], v[91:92], s[2:3], v[67:68]
	v_fma_f64 v[67:68], v[65:66], s[14:15], v[34:35]
	v_fma_f64 v[79:80], v[83:84], 2.0, -v[111:112]
	v_fma_f64 v[8:9], v[65:66], s[8:9], v[8:9]
	v_fma_f64 v[77:78], v[81:82], 2.0, -v[109:110]
	v_fma_f64 v[10:11], v[10:11], s[6:7], v[67:68]
	;; [unrolled: 2-line block ×4, first 2 shown]
	v_fma_f64 v[69:70], v[22:23], s[4:5], v[32:33]
	v_fma_f64 v[71:72], v[20:21], s[2:3], v[34:35]
	v_fma_f64 v[73:74], v[16:17], 2.0, -v[69:70]
	v_fma_f64 v[16:17], v[79:80], s[6:7], v[85:86]
	v_fma_f64 v[75:76], v[18:19], 2.0, -v[71:72]
	v_fma_f64 v[18:19], v[77:78], s[6:7], v[87:88]
	v_fma_f64 v[77:78], v[77:78], s[16:17], v[16:17]
	;; [unrolled: 1-line block ×4, first 2 shown]
	v_fma_f64 v[81:82], v[85:86], 2.0, -v[77:78]
	v_add_f64 v[85:86], v[93:94], v[14:15]
	v_fma_f64 v[14:15], v[12:13], s[8:9], v[97:98]
	v_fma_f64 v[83:84], v[87:88], 2.0, -v[79:80]
	v_add_f64 v[87:88], v[95:96], -v[101:102]
	v_fma_f64 v[89:90], v[93:94], 2.0, -v[85:86]
	v_fma_f64 v[93:94], v[103:104], s[16:17], v[14:15]
	v_fma_f64 v[14:15], v[28:29], s[4:5], v[24:25]
	v_fma_f64 v[91:92], v[95:96], 2.0, -v[87:88]
	v_fma_f64 v[95:96], v[12:13], s[14:15], v[16:17]
	v_fma_f64 v[12:13], v[30:31], s[4:5], v[26:27]
	;; [unrolled: 3-line block ×4, first 2 shown]
	v_fma_f64 v[107:108], v[24:25], 2.0, -v[103:104]
	v_fma_f64 v[111:112], v[111:112], s[6:7], v[14:15]
	v_fma_f64 v[105:106], v[26:27], 2.0, -v[101:102]
	v_fma_f64 v[109:110], v[109:110], s[8:9], v[12:13]
	v_fma_f64 v[115:116], v[115:116], 2.0, -v[111:112]
	v_fma_f64 v[113:114], v[113:114], 2.0, -v[109:110]
	ds_write_b128 v203, v[4:7]
	ds_write_b128 v203, v[65:68] offset:4096
	ds_write_b128 v203, v[73:76] offset:8192
	;; [unrolled: 1-line block ×15, first 2 shown]
	s_waitcnt lgkmcnt(0)
	s_barrier
	ds_read_b128 v[0:3], v203
	v_mov_b32_e32 v8, s13
	s_waitcnt lgkmcnt(0)
	v_mul_f64 v[4:5], v[63:64], v[2:3]
	v_fma_f64 v[4:5], v[61:62], v[0:1], v[4:5]
	v_mul_f64 v[0:1], v[63:64], v[0:1]
	v_ldexp_f64 v[4:5], v[4:5], -12
	v_fma_f64 v[0:1], v[61:62], v[2:3], -v[0:1]
	v_ldexp_f64 v[6:7], v[0:1], -12
	v_mad_u64_u32 v[0:1], s[2:3], s0, v253, 0
	v_mad_u64_u32 v[1:2], s[2:3], s1, v253, v[1:2]
	v_lshlrev_b64 v[2:3], 4, v[201:202]
	s_lshl_b64 s[0:1], s[0:1], 12
	v_add_co_u32_e32 v2, vcc, s12, v2
	v_lshlrev_b64 v[0:1], 4, v[0:1]
	v_addc_co_u32_e32 v3, vcc, v8, v3, vcc
	v_add_co_u32_e32 v8, vcc, v2, v0
	v_addc_co_u32_e32 v9, vcc, v3, v1, vcc
	ds_read_b128 v[0:3], v203 offset:4096
	global_store_dwordx4 v[8:9], v[4:7], off
	v_add_co_u32_e32 v10, vcc, s0, v8
	s_waitcnt lgkmcnt(0)
	v_mul_f64 v[4:5], v[55:56], v[2:3]
	v_fma_f64 v[4:5], v[53:54], v[0:1], v[4:5]
	v_mul_f64 v[0:1], v[55:56], v[0:1]
	v_ldexp_f64 v[4:5], v[4:5], -12
	v_fma_f64 v[0:1], v[53:54], v[2:3], -v[0:1]
	v_ldexp_f64 v[6:7], v[0:1], -12
	v_mov_b32_e32 v0, s1
	v_addc_co_u32_e32 v11, vcc, v9, v0, vcc
	v_add_co_u32_e32 v9, vcc, s0, v10
	global_store_dwordx4 v[10:11], v[4:7], off
	ds_read_b128 v[1:4], v203 offset:8192
	v_addc_co_u32_e32 v10, vcc, v11, v0, vcc
	s_waitcnt lgkmcnt(0)
	v_mul_f64 v[5:6], v[59:60], v[3:4]
	v_fma_f64 v[5:6], v[57:58], v[1:2], v[5:6]
	v_mul_f64 v[1:2], v[59:60], v[1:2]
	v_ldexp_f64 v[5:6], v[5:6], -12
	v_fma_f64 v[1:2], v[57:58], v[3:4], -v[1:2]
	v_ldexp_f64 v[7:8], v[1:2], -12
	ds_read_b128 v[1:4], v203 offset:12288
	global_store_dwordx4 v[9:10], v[5:8], off
	s_waitcnt lgkmcnt(0)
	v_mul_f64 v[5:6], v[47:48], v[3:4]
	v_add_co_u32_e32 v9, vcc, s0, v9
	v_addc_co_u32_e32 v10, vcc, v10, v0, vcc
	v_fma_f64 v[5:6], v[45:46], v[1:2], v[5:6]
	v_mul_f64 v[1:2], v[47:48], v[1:2]
	v_ldexp_f64 v[5:6], v[5:6], -12
	v_fma_f64 v[1:2], v[45:46], v[3:4], -v[1:2]
	v_ldexp_f64 v[7:8], v[1:2], -12
	ds_read_b128 v[1:4], v203 offset:16384
	global_store_dwordx4 v[9:10], v[5:8], off
	s_waitcnt lgkmcnt(0)
	v_mul_f64 v[5:6], v[51:52], v[3:4]
	v_add_co_u32_e32 v9, vcc, s0, v9
	v_addc_co_u32_e32 v10, vcc, v10, v0, vcc
	;; [unrolled: 11-line block ×6, first 2 shown]
	v_fma_f64 v[5:6], v[209:210], v[1:2], v[5:6]
	v_mul_f64 v[1:2], v[211:212], v[1:2]
	v_ldexp_f64 v[5:6], v[5:6], -12
	v_fma_f64 v[1:2], v[209:210], v[3:4], -v[1:2]
	v_ldexp_f64 v[7:8], v[1:2], -12
	ds_read_b128 v[1:4], v203 offset:36864
	global_store_dwordx4 v[9:10], v[5:8], off
	buffer_load_dword v11, off, s[24:27], 0 offset:80 ; 4-byte Folded Reload
	buffer_load_dword v12, off, s[24:27], 0 offset:84 ; 4-byte Folded Reload
	buffer_load_dword v13, off, s[24:27], 0 offset:88 ; 4-byte Folded Reload
	buffer_load_dword v14, off, s[24:27], 0 offset:92 ; 4-byte Folded Reload
	v_add_co_u32_e32 v9, vcc, s0, v9
	v_addc_co_u32_e32 v10, vcc, v10, v0, vcc
	s_waitcnt vmcnt(0) lgkmcnt(0)
	v_mul_f64 v[5:6], v[13:14], v[3:4]
	v_fma_f64 v[5:6], v[11:12], v[1:2], v[5:6]
	v_mul_f64 v[1:2], v[13:14], v[1:2]
	v_ldexp_f64 v[5:6], v[5:6], -12
	v_fma_f64 v[1:2], v[11:12], v[3:4], -v[1:2]
	v_ldexp_f64 v[7:8], v[1:2], -12
	ds_read_b128 v[1:4], v203 offset:40960
	global_store_dwordx4 v[9:10], v[5:8], off
	buffer_load_dword v11, off, s[24:27], 0 offset:64 ; 4-byte Folded Reload
	buffer_load_dword v12, off, s[24:27], 0 offset:68 ; 4-byte Folded Reload
	buffer_load_dword v13, off, s[24:27], 0 offset:72 ; 4-byte Folded Reload
	buffer_load_dword v14, off, s[24:27], 0 offset:76 ; 4-byte Folded Reload
	v_add_co_u32_e32 v9, vcc, s0, v9
	v_addc_co_u32_e32 v10, vcc, v10, v0, vcc
	s_waitcnt vmcnt(0) lgkmcnt(0)
	v_mul_f64 v[5:6], v[13:14], v[3:4]
	;; [unrolled: 15-line block ×4, first 2 shown]
	v_fma_f64 v[5:6], v[11:12], v[1:2], v[5:6]
	v_mul_f64 v[1:2], v[13:14], v[1:2]
	v_ldexp_f64 v[5:6], v[5:6], -12
	v_fma_f64 v[1:2], v[11:12], v[3:4], -v[1:2]
	v_ldexp_f64 v[7:8], v[1:2], -12
	ds_read_b128 v[1:4], v203 offset:53248
	global_store_dwordx4 v[9:10], v[5:8], off
	buffer_load_dword v11, off, s[24:27], 0 ; 4-byte Folded Reload
	buffer_load_dword v12, off, s[24:27], 0 offset:4 ; 4-byte Folded Reload
	buffer_load_dword v13, off, s[24:27], 0 offset:8 ; 4-byte Folded Reload
	;; [unrolled: 1-line block ×3, first 2 shown]
	v_add_co_u32_e32 v9, vcc, s0, v9
	v_addc_co_u32_e32 v10, vcc, v10, v0, vcc
	s_waitcnt vmcnt(0) lgkmcnt(0)
	v_mul_f64 v[5:6], v[13:14], v[3:4]
	v_fma_f64 v[5:6], v[11:12], v[1:2], v[5:6]
	v_mul_f64 v[1:2], v[13:14], v[1:2]
	v_ldexp_f64 v[5:6], v[5:6], -12
	v_fma_f64 v[1:2], v[11:12], v[3:4], -v[1:2]
	v_ldexp_f64 v[7:8], v[1:2], -12
	ds_read_b128 v[1:4], v203 offset:57344
	global_store_dwordx4 v[9:10], v[5:8], off
	buffer_load_dword v11, off, s[24:27], 0 offset:16 ; 4-byte Folded Reload
	buffer_load_dword v12, off, s[24:27], 0 offset:20 ; 4-byte Folded Reload
	buffer_load_dword v13, off, s[24:27], 0 offset:24 ; 4-byte Folded Reload
	buffer_load_dword v14, off, s[24:27], 0 offset:28 ; 4-byte Folded Reload
	v_add_co_u32_e32 v9, vcc, s0, v9
	v_addc_co_u32_e32 v10, vcc, v10, v0, vcc
	s_waitcnt vmcnt(0) lgkmcnt(0)
	v_mul_f64 v[5:6], v[13:14], v[3:4]
	v_fma_f64 v[5:6], v[11:12], v[1:2], v[5:6]
	v_mul_f64 v[1:2], v[13:14], v[1:2]
	v_ldexp_f64 v[5:6], v[5:6], -12
	v_fma_f64 v[1:2], v[11:12], v[3:4], -v[1:2]
	v_ldexp_f64 v[7:8], v[1:2], -12
	ds_read_b128 v[1:4], v203 offset:61440
	global_store_dwordx4 v[9:10], v[5:8], off
	buffer_load_dword v11, off, s[24:27], 0 offset:96 ; 4-byte Folded Reload
	buffer_load_dword v12, off, s[24:27], 0 offset:100 ; 4-byte Folded Reload
	;; [unrolled: 1-line block ×4, first 2 shown]
	s_waitcnt vmcnt(0) lgkmcnt(0)
	v_mul_f64 v[5:6], v[13:14], v[3:4]
	v_fma_f64 v[5:6], v[11:12], v[1:2], v[5:6]
	v_mul_f64 v[1:2], v[13:14], v[1:2]
	v_ldexp_f64 v[5:6], v[5:6], -12
	v_fma_f64 v[1:2], v[11:12], v[3:4], -v[1:2]
	v_ldexp_f64 v[7:8], v[1:2], -12
	v_add_co_u32_e32 v1, vcc, s0, v9
	v_addc_co_u32_e32 v2, vcc, v10, v0, vcc
	global_store_dwordx4 v[1:2], v[5:8], off
.LBB0_2:
	s_endpgm
	.section	.rodata,"a",@progbits
	.p2align	6, 0x0
	.amdhsa_kernel bluestein_single_fwd_len4096_dim1_dp_op_CI_CI
		.amdhsa_group_segment_fixed_size 65536
		.amdhsa_private_segment_fixed_size 116
		.amdhsa_kernarg_size 104
		.amdhsa_user_sgpr_count 6
		.amdhsa_user_sgpr_private_segment_buffer 1
		.amdhsa_user_sgpr_dispatch_ptr 0
		.amdhsa_user_sgpr_queue_ptr 0
		.amdhsa_user_sgpr_kernarg_segment_ptr 1
		.amdhsa_user_sgpr_dispatch_id 0
		.amdhsa_user_sgpr_flat_scratch_init 0
		.amdhsa_user_sgpr_private_segment_size 0
		.amdhsa_uses_dynamic_stack 0
		.amdhsa_system_sgpr_private_segment_wavefront_offset 1
		.amdhsa_system_sgpr_workgroup_id_x 1
		.amdhsa_system_sgpr_workgroup_id_y 0
		.amdhsa_system_sgpr_workgroup_id_z 0
		.amdhsa_system_sgpr_workgroup_info 0
		.amdhsa_system_vgpr_workitem_id 0
		.amdhsa_next_free_vgpr 256
		.amdhsa_next_free_sgpr 28
		.amdhsa_reserve_vcc 1
		.amdhsa_reserve_flat_scratch 0
		.amdhsa_float_round_mode_32 0
		.amdhsa_float_round_mode_16_64 0
		.amdhsa_float_denorm_mode_32 3
		.amdhsa_float_denorm_mode_16_64 3
		.amdhsa_dx10_clamp 1
		.amdhsa_ieee_mode 1
		.amdhsa_fp16_overflow 0
		.amdhsa_exception_fp_ieee_invalid_op 0
		.amdhsa_exception_fp_denorm_src 0
		.amdhsa_exception_fp_ieee_div_zero 0
		.amdhsa_exception_fp_ieee_overflow 0
		.amdhsa_exception_fp_ieee_underflow 0
		.amdhsa_exception_fp_ieee_inexact 0
		.amdhsa_exception_int_div_zero 0
	.end_amdhsa_kernel
	.text
.Lfunc_end0:
	.size	bluestein_single_fwd_len4096_dim1_dp_op_CI_CI, .Lfunc_end0-bluestein_single_fwd_len4096_dim1_dp_op_CI_CI
                                        ; -- End function
	.section	.AMDGPU.csdata,"",@progbits
; Kernel info:
; codeLenInByte = 15476
; NumSgprs: 32
; NumVgprs: 256
; ScratchSize: 116
; MemoryBound: 0
; FloatMode: 240
; IeeeMode: 1
; LDSByteSize: 65536 bytes/workgroup (compile time only)
; SGPRBlocks: 3
; VGPRBlocks: 63
; NumSGPRsForWavesPerEU: 32
; NumVGPRsForWavesPerEU: 256
; Occupancy: 1
; WaveLimiterHint : 1
; COMPUTE_PGM_RSRC2:SCRATCH_EN: 1
; COMPUTE_PGM_RSRC2:USER_SGPR: 6
; COMPUTE_PGM_RSRC2:TRAP_HANDLER: 0
; COMPUTE_PGM_RSRC2:TGID_X_EN: 1
; COMPUTE_PGM_RSRC2:TGID_Y_EN: 0
; COMPUTE_PGM_RSRC2:TGID_Z_EN: 0
; COMPUTE_PGM_RSRC2:TIDIG_COMP_CNT: 0
	.type	__hip_cuid_dc2ae6ded7ee91b5,@object ; @__hip_cuid_dc2ae6ded7ee91b5
	.section	.bss,"aw",@nobits
	.globl	__hip_cuid_dc2ae6ded7ee91b5
__hip_cuid_dc2ae6ded7ee91b5:
	.byte	0                               ; 0x0
	.size	__hip_cuid_dc2ae6ded7ee91b5, 1

	.ident	"AMD clang version 19.0.0git (https://github.com/RadeonOpenCompute/llvm-project roc-6.4.0 25133 c7fe45cf4b819c5991fe208aaa96edf142730f1d)"
	.section	".note.GNU-stack","",@progbits
	.addrsig
	.addrsig_sym __hip_cuid_dc2ae6ded7ee91b5
	.amdgpu_metadata
---
amdhsa.kernels:
  - .args:
      - .actual_access:  read_only
        .address_space:  global
        .offset:         0
        .size:           8
        .value_kind:     global_buffer
      - .actual_access:  read_only
        .address_space:  global
        .offset:         8
        .size:           8
        .value_kind:     global_buffer
      - .actual_access:  read_only
        .address_space:  global
        .offset:         16
        .size:           8
        .value_kind:     global_buffer
      - .actual_access:  read_only
        .address_space:  global
        .offset:         24
        .size:           8
        .value_kind:     global_buffer
      - .actual_access:  read_only
        .address_space:  global
        .offset:         32
        .size:           8
        .value_kind:     global_buffer
      - .offset:         40
        .size:           8
        .value_kind:     by_value
      - .address_space:  global
        .offset:         48
        .size:           8
        .value_kind:     global_buffer
      - .address_space:  global
        .offset:         56
        .size:           8
        .value_kind:     global_buffer
      - .address_space:  global
        .offset:         64
        .size:           8
        .value_kind:     global_buffer
      - .address_space:  global
        .offset:         72
        .size:           8
        .value_kind:     global_buffer
      - .offset:         80
        .size:           4
        .value_kind:     by_value
      - .address_space:  global
        .offset:         88
        .size:           8
        .value_kind:     global_buffer
      - .address_space:  global
        .offset:         96
        .size:           8
        .value_kind:     global_buffer
    .group_segment_fixed_size: 65536
    .kernarg_segment_align: 8
    .kernarg_segment_size: 104
    .language:       OpenCL C
    .language_version:
      - 2
      - 0
    .max_flat_workgroup_size: 256
    .name:           bluestein_single_fwd_len4096_dim1_dp_op_CI_CI
    .private_segment_fixed_size: 116
    .sgpr_count:     32
    .sgpr_spill_count: 0
    .symbol:         bluestein_single_fwd_len4096_dim1_dp_op_CI_CI.kd
    .uniform_work_group_size: 1
    .uses_dynamic_stack: false
    .vgpr_count:     256
    .vgpr_spill_count: 28
    .wavefront_size: 64
amdhsa.target:   amdgcn-amd-amdhsa--gfx906
amdhsa.version:
  - 1
  - 2
...

	.end_amdgpu_metadata
